;; amdgpu-corpus repo=pytorch/pytorch kind=compiled arch=gfx1250 opt=O3
	.amdgcn_target "amdgcn-amd-amdhsa--gfx1250"
	.amdhsa_code_object_version 6
	.section	.text._ZN2at6native12_GLOBAL__N_130avg_pool2d_out_cuda_frame_nhwcIddEEviPKT_llliiiiiiiiPS3_ibb,"axG",@progbits,_ZN2at6native12_GLOBAL__N_130avg_pool2d_out_cuda_frame_nhwcIddEEviPKT_llliiiiiiiiPS3_ibb,comdat
	.globl	_ZN2at6native12_GLOBAL__N_130avg_pool2d_out_cuda_frame_nhwcIddEEviPKT_llliiiiiiiiPS3_ibb ; -- Begin function _ZN2at6native12_GLOBAL__N_130avg_pool2d_out_cuda_frame_nhwcIddEEviPKT_llliiiiiiiiPS3_ibb
	.p2align	8
	.type	_ZN2at6native12_GLOBAL__N_130avg_pool2d_out_cuda_frame_nhwcIddEEviPKT_llliiiiiiiiPS3_ibb,@function
_ZN2at6native12_GLOBAL__N_130avg_pool2d_out_cuda_frame_nhwcIddEEviPKT_llliiiiiiiiPS3_ibb: ; @_ZN2at6native12_GLOBAL__N_130avg_pool2d_out_cuda_frame_nhwcIddEEviPKT_llliiiiiiiiPS3_ibb
; %bb.0:
	s_clause 0x1
	s_load_b32 s2, s[0:1], 0x0
	s_load_b32 s4, s[0:1], 0x64
	s_bfe_u32 s3, ttmp6, 0x4000c
	v_mov_b32_e32 v2, 0
	s_add_co_i32 s3, s3, 1
	s_and_b32 s5, ttmp6, 15
	s_mul_i32 s7, ttmp9, s3
	s_getreg_b32 s6, hwreg(HW_REG_IB_STS2, 6, 4)
	v_mov_b32_e32 v1, v2
	s_add_co_i32 s5, s5, s7
	s_mov_b32 s25, 0
	s_wait_kmcnt 0x0
	s_ashr_i32 s3, s2, 31
	s_and_b32 s24, s4, 0xffff
	s_cmp_eq_u32 s6, 0
	s_cselect_b32 s4, ttmp9, s5
	s_delay_alu instid0(SALU_CYCLE_1) | instskip(SKIP_1) | instid1(VALU_DEP_1)
	v_mad_nc_u64_u32 v[0:1], s24, s4, v[0:1]
	s_mov_b32 s4, exec_lo
	v_cmpx_gt_i64_e64 s[2:3], v[0:1]
	s_cbranch_execz .LBB0_21
; %bb.1:
	s_clause 0x3
	s_load_b256 s[4:11], s[0:1], 0x8
	s_load_b128 s[20:23], s[0:1], 0x48
	s_load_b32 s28, s[0:1], 0x54
	s_load_b256 s[12:19], s[0:1], 0x28
	s_add_nc_u64 s[26:27], s[0:1], 0x58
	s_mov_b32 s29, s25
	s_wait_xcnt 0x0
	s_load_b32 s1, s[26:27], 0x0
	s_mov_b64 s[36:37], 0xffffffff
	s_wait_kmcnt 0x0
	v_cvt_f32_u32_e32 v3, s6
	s_bitcmp1_b32 s23, 0
	s_mul_u64 s[30:31], s[10:11], s[8:9]
	s_cselect_b32 s0, -1, 0
	s_bitcmp1_b32 s28, 8
	v_rcp_iflag_f32_e32 v3, v3
	s_cselect_b32 s23, -1, 0
	s_sub_co_i32 s26, 0, s6
	s_ashr_i32 s27, s13, 31
	s_mul_u64 s[34:35], s[10:11], s[6:7]
	s_add_co_i32 s33, s18, s8
	s_add_co_i32 s48, s19, s10
	v_nop
	v_mul_f32_e32 v3, 0x4f7ffffe, v3
	s_mul_i32 s28, s1, s24
	s_lshl_b64 s[30:31], s[30:31], 3
	s_lshl_b64 s[34:35], s[34:35], 3
	;; [unrolled: 1-line block ×3, first 2 shown]
	v_cvt_u32_f32_e32 v3, v3
	s_ashr_i32 s40, s7, 31
	s_ashr_i32 s42, s27, 31
	s_mov_b32 s9, 0
	s_delay_alu instid0(VALU_DEP_1) | instskip(SKIP_2) | instid1(VALU_DEP_1)
	v_mul_lo_u32 v4, s26, v3
	s_mov_b32 s26, s13
	s_ashr_i32 s13, s12, 31
	v_mul_hi_u32 v4, v3, v4
	s_delay_alu instid0(VALU_DEP_1)
	v_add_nc_u32_e32 v12, v3, v4
	s_branch .LBB0_3
.LBB0_2:                                ;   in Loop: Header=BB0_3 Depth=1
	s_or_b32 exec_lo, exec_lo, s1
	v_lshl_add_u64 v[4:5], v[0:1], 3, s[20:21]
	v_add_nc_u64_e32 v[0:1], s[28:29], v[0:1]
	global_store_b64 v[4:5], v[10:11], off
	v_cmp_le_i64_e32 vcc_lo, s[2:3], v[0:1]
	s_or_b32 s9, vcc_lo, s9
	s_wait_xcnt 0x0
	s_and_not1_b32 exec_lo, exec_lo, s9
	s_cbranch_execz .LBB0_21
.LBB0_3:                                ; =>This Loop Header: Depth=1
                                        ;     Child Loop BB0_17 Depth 2
                                        ;       Child Loop BB0_18 Depth 3
	v_or_b32_e32 v3, s7, v1
                                        ; implicit-def: $vgpr4_vgpr5
	s_mov_b32 s1, exec_lo
	s_delay_alu instid0(VALU_DEP_1)
	v_cmpx_ne_u64_e32 0, v[2:3]
	s_xor_b32 s43, exec_lo, s1
	s_cbranch_execz .LBB0_5
; %bb.4:                                ;   in Loop: Header=BB0_3 Depth=1
	s_mov_b32 s41, s40
	v_dual_mov_b32 v9, v2 :: v_dual_ashrrev_i32 v4, 31, v1
	s_add_nc_u64 s[44:45], s[6:7], s[40:41]
	v_mov_b32_e32 v19, v2
	s_xor_b64 s[44:45], s[44:45], s[40:41]
	s_delay_alu instid0(VALU_DEP_2) | instskip(SKIP_3) | instid1(VALU_DEP_1)
	v_mov_b32_e32 v5, v4
	s_cvt_f32_u32 s1, s44
	s_cvt_f32_u32 s24, s45
	s_sub_nc_u64 s[50:51], 0, s[44:45]
	v_add_nc_u64_e32 v[6:7], v[0:1], v[4:5]
	s_delay_alu instid0(SALU_CYCLE_1) | instskip(SKIP_1) | instid1(SALU_CYCLE_2)
	s_fmamk_f32 s1, s24, 0x4f800000, s1
	v_mov_b32_e32 v15, v2
	v_s_rcp_f32 s1, s1
	s_delay_alu instid0(VALU_DEP_2) | instskip(NEXT) | instid1(VALU_DEP_3)
	v_xor_b32_e32 v8, v6, v4
	v_xor_b32_e32 v14, v7, v4
	s_delay_alu instid0(TRANS32_DEP_1) | instskip(NEXT) | instid1(SALU_CYCLE_3)
	s_mul_f32 s1, s1, 0x5f7ffffc
	s_mul_f32 s24, s1, 0x2f800000
	s_delay_alu instid0(SALU_CYCLE_3) | instskip(NEXT) | instid1(SALU_CYCLE_3)
	s_trunc_f32 s24, s24
	s_fmamk_f32 s1, s24, 0xcf800000, s1
	s_cvt_u32_f32 s47, s24
	s_delay_alu instid0(SALU_CYCLE_2) | instskip(NEXT) | instid1(SALU_CYCLE_3)
	s_cvt_u32_f32 s46, s1
	s_mul_u64 s[52:53], s[50:51], s[46:47]
	s_delay_alu instid0(SALU_CYCLE_1)
	s_mul_hi_u32 s55, s46, s53
	s_mul_i32 s54, s46, s53
	s_mul_hi_u32 s24, s46, s52
	s_mul_i32 s41, s47, s52
	s_add_nc_u64 s[54:55], s[24:25], s[54:55]
	s_mul_hi_u32 s1, s47, s52
	s_mul_hi_u32 s49, s47, s53
	s_add_co_u32 s24, s54, s41
	s_add_co_ci_u32 s24, s55, s1
	s_mul_i32 s52, s47, s53
	s_add_co_ci_u32 s53, s49, 0
	s_delay_alu instid0(SALU_CYCLE_1) | instskip(NEXT) | instid1(SALU_CYCLE_1)
	s_add_nc_u64 s[52:53], s[24:25], s[52:53]
	s_add_co_u32 s46, s46, s52
	s_cselect_b32 s1, -1, 0
	s_delay_alu instid0(SALU_CYCLE_1) | instskip(SKIP_1) | instid1(SALU_CYCLE_1)
	s_cmp_lg_u32 s1, 0
	s_add_co_ci_u32 s47, s47, s53
	s_mul_u64 s[50:51], s[50:51], s[46:47]
	s_delay_alu instid0(SALU_CYCLE_1)
	s_mul_hi_u32 s53, s46, s51
	s_mul_i32 s52, s46, s51
	s_mul_hi_u32 s24, s46, s50
	s_mul_i32 s41, s47, s50
	s_add_nc_u64 s[52:53], s[24:25], s[52:53]
	s_mul_hi_u32 s1, s47, s50
	s_mul_hi_u32 s49, s47, s51
	s_add_co_u32 s24, s52, s41
	s_add_co_ci_u32 s24, s53, s1
	s_mul_i32 s50, s47, s51
	s_add_co_ci_u32 s51, s49, 0
	s_delay_alu instid0(SALU_CYCLE_1) | instskip(NEXT) | instid1(SALU_CYCLE_1)
	s_add_nc_u64 s[50:51], s[24:25], s[50:51]
	s_add_co_u32 s46, s46, s50
	s_cselect_b32 s1, -1, 0
	v_mul_hi_u32 v18, v8, s46
	s_cmp_lg_u32 s1, 0
	s_add_co_ci_u32 s24, s47, s51
	s_and_b64 s[50:51], s[46:47], s[36:37]
	v_mul_u64_e32 v[10:11], s[24:25], v[8:9]
	v_mul_u64_e32 v[6:7], s[50:51], v[14:15]
	;; [unrolled: 1-line block ×3, first 2 shown]
	s_delay_alu instid0(VALU_DEP_3) | instskip(NEXT) | instid1(VALU_DEP_1)
	v_add_nc_u64_e32 v[10:11], v[18:19], v[10:11]
	v_add_co_u32 v3, vcc_lo, v10, v6
	s_delay_alu instid0(VALU_DEP_2) | instskip(NEXT) | instid1(VALU_DEP_4)
	v_add_co_ci_u32_e32 v18, vcc_lo, v11, v7, vcc_lo
	v_add_co_ci_u32_e32 v17, vcc_lo, 0, v17, vcc_lo
	s_delay_alu instid0(VALU_DEP_1) | instskip(NEXT) | instid1(VALU_DEP_1)
	v_add_nc_u64_e32 v[6:7], v[18:19], v[16:17]
	v_mul_u64_e32 v[10:11], s[44:45], v[6:7]
	s_delay_alu instid0(VALU_DEP_1) | instskip(NEXT) | instid1(VALU_DEP_2)
	v_sub_nc_u32_e32 v3, v14, v11
	v_sub_co_u32 v5, vcc_lo, v8, v10
	s_delay_alu instid0(VALU_DEP_1) | instskip(NEXT) | instid1(VALU_DEP_3)
	v_sub_co_ci_u32_e64 v13, null, v14, v11, vcc_lo
	v_subrev_co_ci_u32_e64 v3, null, s45, v3, vcc_lo
	s_delay_alu instid0(VALU_DEP_3) | instskip(SKIP_1) | instid1(VALU_DEP_3)
	v_sub_co_u32 v8, s1, v5, s44
	v_add_nc_u64_e32 v[10:11], 1, v[6:7]
	v_subrev_co_ci_u32_e64 v3, null, 0, v3, s1
	s_delay_alu instid0(VALU_DEP_3) | instskip(SKIP_1) | instid1(VALU_DEP_3)
	v_cmp_le_u32_e32 vcc_lo, s44, v8
	v_cndmask_b32_e64 v8, 0, -1, vcc_lo
	v_cmp_le_u32_e32 vcc_lo, s45, v3
	v_cndmask_b32_e64 v9, 0, -1, vcc_lo
	;; [unrolled: 2-line block ×4, first 2 shown]
	v_cmp_eq_u32_e32 vcc_lo, s45, v3
	v_cndmask_b32_e32 v3, v9, v8, vcc_lo
	v_cmp_eq_u32_e32 vcc_lo, s45, v13
	v_add_nc_u64_e32 v[8:9], 2, v[6:7]
	v_cndmask_b32_e32 v5, v14, v5, vcc_lo
	s_delay_alu instid0(VALU_DEP_4) | instskip(NEXT) | instid1(VALU_DEP_2)
	v_cmp_ne_u32_e32 vcc_lo, 0, v3
	v_cmp_ne_u32_e64 s1, 0, v5
	s_delay_alu instid0(VALU_DEP_4) | instskip(NEXT) | instid1(VALU_DEP_1)
	v_dual_cndmask_b32 v3, v11, v9, vcc_lo :: v_dual_cndmask_b32 v5, v10, v8, vcc_lo
	v_dual_cndmask_b32 v3, v7, v3, s1 :: v_dual_bitop2_b32 v4, s40, v4 bitop3:0x14
	s_delay_alu instid0(VALU_DEP_1) | instskip(NEXT) | instid1(VALU_DEP_2)
	v_dual_cndmask_b32 v6, v6, v5, s1 :: v_dual_mov_b32 v5, v4
	v_xor_b32_e32 v7, v3, v4
	s_delay_alu instid0(VALU_DEP_2) | instskip(NEXT) | instid1(VALU_DEP_1)
	v_xor_b32_e32 v6, v6, v4
	v_sub_nc_u64_e32 v[4:5], v[6:7], v[4:5]
.LBB0_5:                                ;   in Loop: Header=BB0_3 Depth=1
	s_and_not1_saveexec_b32 s1, s43
	s_cbranch_execz .LBB0_7
; %bb.6:                                ;   in Loop: Header=BB0_3 Depth=1
	v_mul_hi_u32 v3, v0, v12
	s_delay_alu instid0(VALU_DEP_1) | instskip(NEXT) | instid1(VALU_DEP_1)
	v_mul_lo_u32 v4, v3, s6
	v_dual_add_nc_u32 v5, 1, v3 :: v_dual_sub_nc_u32 v4, v0, v4
	s_delay_alu instid0(VALU_DEP_1) | instskip(SKIP_1) | instid1(VALU_DEP_2)
	v_subrev_nc_u32_e32 v6, s6, v4
	v_cmp_le_u32_e32 vcc_lo, s6, v4
	v_dual_cndmask_b32 v4, v4, v6 :: v_dual_cndmask_b32 v3, v3, v5
	s_delay_alu instid0(VALU_DEP_1) | instskip(NEXT) | instid1(VALU_DEP_2)
	v_cmp_le_u32_e32 vcc_lo, s6, v4
	v_add_nc_u32_e32 v5, 1, v3
	s_delay_alu instid0(VALU_DEP_1)
	v_dual_cndmask_b32 v4, v3, v5 :: v_dual_mov_b32 v5, v2
.LBB0_7:                                ;   in Loop: Header=BB0_3 Depth=1
	s_or_b32 exec_lo, exec_lo, s1
	s_delay_alu instid0(VALU_DEP_1) | instskip(SKIP_1) | instid1(VALU_DEP_1)
	v_or_b32_e32 v3, s27, v5
                                        ; implicit-def: $vgpr6_vgpr7
	s_mov_b32 s1, exec_lo
	v_cmpx_ne_u64_e32 0, v[2:3]
	s_xor_b32 s41, exec_lo, s1
	s_cbranch_execz .LBB0_9
; %bb.8:                                ;   in Loop: Header=BB0_3 Depth=1
	s_mov_b32 s43, s42
	v_dual_mov_b32 v11, v2 :: v_dual_ashrrev_i32 v6, 31, v5
	s_add_nc_u64 s[44:45], s[26:27], s[42:43]
	s_delay_alu instid0(SALU_CYCLE_1) | instskip(NEXT) | instid1(VALU_DEP_1)
	s_xor_b64 s[44:45], s[44:45], s[42:43]
	v_mov_b32_e32 v7, v6
	s_cvt_f32_u32 s1, s44
	s_cvt_f32_u32 s24, s45
	s_sub_nc_u64 s[50:51], 0, s[44:45]
	s_delay_alu instid0(VALU_DEP_1) | instskip(NEXT) | instid1(SALU_CYCLE_1)
	v_add_nc_u64_e32 v[8:9], v[4:5], v[6:7]
	s_fmamk_f32 s1, s24, 0x4f800000, s1
	v_mov_b32_e32 v17, v2
	s_delay_alu instid0(SALU_CYCLE_2) | instskip(NEXT) | instid1(VALU_DEP_2)
	v_s_rcp_f32 s1, s1
	v_xor_b32_e32 v10, v8, v6
	s_delay_alu instid0(VALU_DEP_3) | instskip(NEXT) | instid1(TRANS32_DEP_1)
	v_dual_mov_b32 v21, v2 :: v_dual_bitop2_b32 v16, v9, v6 bitop3:0x14
	s_mul_f32 s1, s1, 0x5f7ffffc
	s_delay_alu instid0(SALU_CYCLE_3) | instskip(NEXT) | instid1(SALU_CYCLE_3)
	s_mul_f32 s24, s1, 0x2f800000
	s_trunc_f32 s24, s24
	s_delay_alu instid0(SALU_CYCLE_3) | instskip(SKIP_1) | instid1(SALU_CYCLE_2)
	s_fmamk_f32 s1, s24, 0xcf800000, s1
	s_cvt_u32_f32 s47, s24
	s_cvt_u32_f32 s46, s1
	s_delay_alu instid0(SALU_CYCLE_3) | instskip(NEXT) | instid1(SALU_CYCLE_1)
	s_mul_u64 s[52:53], s[50:51], s[46:47]
	s_mul_hi_u32 s55, s46, s53
	s_mul_i32 s54, s46, s53
	s_mul_hi_u32 s24, s46, s52
	s_mul_i32 s43, s47, s52
	s_add_nc_u64 s[54:55], s[24:25], s[54:55]
	s_mul_hi_u32 s1, s47, s52
	s_mul_hi_u32 s49, s47, s53
	s_add_co_u32 s24, s54, s43
	s_add_co_ci_u32 s24, s55, s1
	s_mul_i32 s52, s47, s53
	s_add_co_ci_u32 s53, s49, 0
	s_delay_alu instid0(SALU_CYCLE_1) | instskip(NEXT) | instid1(SALU_CYCLE_1)
	s_add_nc_u64 s[52:53], s[24:25], s[52:53]
	s_add_co_u32 s46, s46, s52
	s_cselect_b32 s1, -1, 0
	s_delay_alu instid0(SALU_CYCLE_1) | instskip(SKIP_1) | instid1(SALU_CYCLE_1)
	s_cmp_lg_u32 s1, 0
	s_add_co_ci_u32 s47, s47, s53
	s_mul_u64 s[50:51], s[50:51], s[46:47]
	s_delay_alu instid0(SALU_CYCLE_1)
	s_mul_hi_u32 s53, s46, s51
	s_mul_i32 s52, s46, s51
	s_mul_hi_u32 s24, s46, s50
	s_mul_i32 s43, s47, s50
	s_add_nc_u64 s[52:53], s[24:25], s[52:53]
	s_mul_hi_u32 s1, s47, s50
	s_mul_hi_u32 s49, s47, s51
	s_add_co_u32 s24, s52, s43
	s_add_co_ci_u32 s24, s53, s1
	s_mul_i32 s50, s47, s51
	s_add_co_ci_u32 s51, s49, 0
	s_delay_alu instid0(SALU_CYCLE_1) | instskip(NEXT) | instid1(SALU_CYCLE_1)
	s_add_nc_u64 s[50:51], s[24:25], s[50:51]
	s_add_co_u32 s46, s46, s50
	s_cselect_b32 s1, -1, 0
	v_mul_hi_u32 v20, v10, s46
	s_cmp_lg_u32 s1, 0
	s_add_co_ci_u32 s24, s47, s51
	s_and_b64 s[50:51], s[46:47], s[36:37]
	v_mul_u64_e32 v[14:15], s[24:25], v[10:11]
	v_mul_u64_e32 v[8:9], s[50:51], v[16:17]
	;; [unrolled: 1-line block ×3, first 2 shown]
	s_delay_alu instid0(VALU_DEP_3) | instskip(NEXT) | instid1(VALU_DEP_1)
	v_add_nc_u64_e32 v[14:15], v[20:21], v[14:15]
	v_add_co_u32 v3, vcc_lo, v14, v8
	s_delay_alu instid0(VALU_DEP_2) | instskip(NEXT) | instid1(VALU_DEP_4)
	v_add_co_ci_u32_e32 v20, vcc_lo, v15, v9, vcc_lo
	v_add_co_ci_u32_e32 v19, vcc_lo, 0, v19, vcc_lo
	s_delay_alu instid0(VALU_DEP_1) | instskip(NEXT) | instid1(VALU_DEP_1)
	v_add_nc_u64_e32 v[8:9], v[20:21], v[18:19]
	v_mul_u64_e32 v[14:15], s[44:45], v[8:9]
	s_delay_alu instid0(VALU_DEP_1) | instskip(NEXT) | instid1(VALU_DEP_2)
	v_sub_nc_u32_e32 v3, v16, v15
	v_sub_co_u32 v7, vcc_lo, v10, v14
	s_delay_alu instid0(VALU_DEP_1) | instskip(NEXT) | instid1(VALU_DEP_3)
	v_sub_co_ci_u32_e64 v13, null, v16, v15, vcc_lo
	v_subrev_co_ci_u32_e64 v3, null, s45, v3, vcc_lo
	s_delay_alu instid0(VALU_DEP_3) | instskip(SKIP_1) | instid1(VALU_DEP_3)
	v_sub_co_u32 v10, s1, v7, s44
	v_add_nc_u64_e32 v[14:15], 1, v[8:9]
	v_subrev_co_ci_u32_e64 v3, null, 0, v3, s1
	s_delay_alu instid0(VALU_DEP_3) | instskip(SKIP_1) | instid1(VALU_DEP_3)
	v_cmp_le_u32_e32 vcc_lo, s44, v10
	v_cndmask_b32_e64 v10, 0, -1, vcc_lo
	v_cmp_le_u32_e32 vcc_lo, s45, v3
	v_cndmask_b32_e64 v11, 0, -1, vcc_lo
	;; [unrolled: 2-line block ×4, first 2 shown]
	v_cmp_eq_u32_e32 vcc_lo, s45, v3
	v_cndmask_b32_e32 v3, v11, v10, vcc_lo
	v_cmp_eq_u32_e32 vcc_lo, s45, v13
	v_add_nc_u64_e32 v[10:11], 2, v[8:9]
	v_cndmask_b32_e32 v7, v16, v7, vcc_lo
	s_delay_alu instid0(VALU_DEP_4) | instskip(NEXT) | instid1(VALU_DEP_2)
	v_cmp_ne_u32_e32 vcc_lo, 0, v3
	v_cmp_ne_u32_e64 s1, 0, v7
	s_delay_alu instid0(VALU_DEP_4) | instskip(NEXT) | instid1(VALU_DEP_1)
	v_dual_cndmask_b32 v3, v15, v11, vcc_lo :: v_dual_cndmask_b32 v7, v14, v10, vcc_lo
	v_dual_cndmask_b32 v3, v9, v3, s1 :: v_dual_bitop2_b32 v6, s42, v6 bitop3:0x14
	s_delay_alu instid0(VALU_DEP_1) | instskip(NEXT) | instid1(VALU_DEP_2)
	v_dual_cndmask_b32 v8, v8, v7, s1 :: v_dual_mov_b32 v7, v6
	v_xor_b32_e32 v9, v3, v6
	s_delay_alu instid0(VALU_DEP_2) | instskip(NEXT) | instid1(VALU_DEP_1)
	v_xor_b32_e32 v8, v8, v6
	v_sub_nc_u64_e32 v[6:7], v[8:9], v[6:7]
.LBB0_9:                                ;   in Loop: Header=BB0_3 Depth=1
	s_and_not1_saveexec_b32 s1, s41
	s_cbranch_execz .LBB0_11
; %bb.10:                               ;   in Loop: Header=BB0_3 Depth=1
	v_cvt_f32_u32_e32 v3, s26
	s_sub_co_i32 s24, 0, s26
	s_delay_alu instid0(VALU_DEP_1) | instskip(SKIP_1) | instid1(TRANS32_DEP_1)
	v_rcp_iflag_f32_e32 v3, v3
	v_nop
	v_mul_f32_e32 v3, 0x4f7ffffe, v3
	s_delay_alu instid0(VALU_DEP_1) | instskip(NEXT) | instid1(VALU_DEP_1)
	v_cvt_u32_f32_e32 v3, v3
	v_mul_lo_u32 v6, s24, v3
	s_delay_alu instid0(VALU_DEP_1) | instskip(NEXT) | instid1(VALU_DEP_1)
	v_mul_hi_u32 v6, v3, v6
	v_add_nc_u32_e32 v3, v3, v6
	s_delay_alu instid0(VALU_DEP_1) | instskip(NEXT) | instid1(VALU_DEP_1)
	v_mul_hi_u32 v3, v4, v3
	v_mul_lo_u32 v6, v3, s26
	s_delay_alu instid0(VALU_DEP_1) | instskip(NEXT) | instid1(VALU_DEP_1)
	v_dual_add_nc_u32 v7, 1, v3 :: v_dual_sub_nc_u32 v6, v4, v6
	v_subrev_nc_u32_e32 v8, s26, v6
	v_cmp_le_u32_e32 vcc_lo, s26, v6
	s_delay_alu instid0(VALU_DEP_2) | instskip(NEXT) | instid1(VALU_DEP_1)
	v_dual_cndmask_b32 v6, v6, v8 :: v_dual_cndmask_b32 v3, v3, v7
	v_cmp_le_u32_e32 vcc_lo, s26, v6
	s_delay_alu instid0(VALU_DEP_2) | instskip(NEXT) | instid1(VALU_DEP_1)
	v_add_nc_u32_e32 v7, 1, v3
	v_dual_cndmask_b32 v6, v3, v7 :: v_dual_mov_b32 v7, v2
.LBB0_11:                               ;   in Loop: Header=BB0_3 Depth=1
	s_or_b32 exec_lo, exec_lo, s1
	s_delay_alu instid0(VALU_DEP_1) | instskip(SKIP_1) | instid1(VALU_DEP_1)
	v_or_b32_e32 v3, s13, v7
                                        ; implicit-def: $vgpr8_vgpr9
	s_mov_b32 s1, exec_lo
	v_cmpx_ne_u64_e32 0, v[2:3]
	s_xor_b32 s41, exec_lo, s1
	s_cbranch_execz .LBB0_13
; %bb.12:                               ;   in Loop: Header=BB0_3 Depth=1
	s_ashr_i32 s44, s13, 31
	v_dual_mov_b32 v15, v2 :: v_dual_ashrrev_i32 v8, 31, v7
	s_mov_b32 s45, s44
	v_mov_b32_e32 v23, v2
	s_add_nc_u64 s[46:47], s[12:13], s[44:45]
	s_delay_alu instid0(VALU_DEP_2) | instskip(SKIP_1) | instid1(SALU_CYCLE_1)
	v_mov_b32_e32 v9, v8
	s_xor_b64 s[46:47], s[46:47], s[44:45]
	s_cvt_f32_u32 s1, s46
	s_cvt_f32_u32 s24, s47
	s_sub_nc_u64 s[52:53], 0, s[46:47]
	v_add_nc_u64_e32 v[10:11], v[6:7], v[8:9]
	v_mov_b32_e32 v19, v2
	s_fmamk_f32 s1, s24, 0x4f800000, s1
	s_delay_alu instid0(SALU_CYCLE_3) | instskip(NEXT) | instid1(VALU_DEP_2)
	v_s_rcp_f32 s1, s1
	v_xor_b32_e32 v14, v10, v8
	s_delay_alu instid0(VALU_DEP_3) | instskip(NEXT) | instid1(TRANS32_DEP_1)
	v_xor_b32_e32 v18, v11, v8
	s_mul_f32 s1, s1, 0x5f7ffffc
	s_delay_alu instid0(SALU_CYCLE_3) | instskip(NEXT) | instid1(SALU_CYCLE_3)
	s_mul_f32 s24, s1, 0x2f800000
	s_trunc_f32 s24, s24
	s_delay_alu instid0(SALU_CYCLE_3) | instskip(SKIP_1) | instid1(SALU_CYCLE_2)
	s_fmamk_f32 s1, s24, 0xcf800000, s1
	s_cvt_u32_f32 s51, s24
	s_cvt_u32_f32 s50, s1
	s_delay_alu instid0(SALU_CYCLE_3) | instskip(NEXT) | instid1(SALU_CYCLE_1)
	s_mul_u64 s[54:55], s[52:53], s[50:51]
	s_mul_hi_u32 s57, s50, s55
	s_mul_i32 s56, s50, s55
	s_mul_hi_u32 s24, s50, s54
	s_mul_i32 s43, s51, s54
	s_add_nc_u64 s[56:57], s[24:25], s[56:57]
	s_mul_hi_u32 s1, s51, s54
	s_mul_hi_u32 s45, s51, s55
	s_add_co_u32 s24, s56, s43
	s_add_co_ci_u32 s24, s57, s1
	s_mul_i32 s54, s51, s55
	s_add_co_ci_u32 s55, s45, 0
	s_delay_alu instid0(SALU_CYCLE_1) | instskip(NEXT) | instid1(SALU_CYCLE_1)
	s_add_nc_u64 s[54:55], s[24:25], s[54:55]
	s_add_co_u32 s50, s50, s54
	s_cselect_b32 s1, -1, 0
	s_delay_alu instid0(SALU_CYCLE_1) | instskip(SKIP_1) | instid1(SALU_CYCLE_1)
	s_cmp_lg_u32 s1, 0
	s_add_co_ci_u32 s51, s51, s55
	s_mul_u64 s[52:53], s[52:53], s[50:51]
	s_delay_alu instid0(SALU_CYCLE_1)
	s_mul_hi_u32 s55, s50, s53
	s_mul_i32 s54, s50, s53
	s_mul_hi_u32 s24, s50, s52
	s_mul_i32 s43, s51, s52
	s_add_nc_u64 s[54:55], s[24:25], s[54:55]
	s_mul_hi_u32 s1, s51, s52
	s_mul_hi_u32 s45, s51, s53
	s_add_co_u32 s24, s54, s43
	s_add_co_ci_u32 s24, s55, s1
	s_mul_i32 s52, s51, s53
	s_add_co_ci_u32 s53, s45, 0
	s_delay_alu instid0(SALU_CYCLE_1) | instskip(NEXT) | instid1(SALU_CYCLE_1)
	s_add_nc_u64 s[52:53], s[24:25], s[52:53]
	s_add_co_u32 s50, s50, s52
	s_cselect_b32 s1, -1, 0
	v_mul_hi_u32 v22, v14, s50
	s_cmp_lg_u32 s1, 0
	s_add_co_ci_u32 s24, s51, s53
	s_and_b64 s[52:53], s[50:51], s[36:37]
	v_mul_u64_e32 v[16:17], s[24:25], v[14:15]
	v_mul_u64_e32 v[10:11], s[52:53], v[18:19]
	;; [unrolled: 1-line block ×3, first 2 shown]
	s_delay_alu instid0(VALU_DEP_3) | instskip(NEXT) | instid1(VALU_DEP_1)
	v_add_nc_u64_e32 v[16:17], v[22:23], v[16:17]
	v_add_co_u32 v3, vcc_lo, v16, v10
	s_delay_alu instid0(VALU_DEP_2) | instskip(NEXT) | instid1(VALU_DEP_4)
	v_add_co_ci_u32_e32 v22, vcc_lo, v17, v11, vcc_lo
	v_add_co_ci_u32_e32 v21, vcc_lo, 0, v21, vcc_lo
	s_delay_alu instid0(VALU_DEP_1) | instskip(NEXT) | instid1(VALU_DEP_1)
	v_add_nc_u64_e32 v[10:11], v[22:23], v[20:21]
	v_mul_u64_e32 v[16:17], s[46:47], v[10:11]
	s_delay_alu instid0(VALU_DEP_1) | instskip(NEXT) | instid1(VALU_DEP_2)
	v_sub_nc_u32_e32 v3, v18, v17
	v_sub_co_u32 v7, vcc_lo, v14, v16
	s_delay_alu instid0(VALU_DEP_1) | instskip(NEXT) | instid1(VALU_DEP_3)
	v_sub_co_ci_u32_e64 v13, null, v18, v17, vcc_lo
	v_subrev_co_ci_u32_e64 v3, null, s47, v3, vcc_lo
	s_delay_alu instid0(VALU_DEP_3) | instskip(SKIP_1) | instid1(VALU_DEP_3)
	v_sub_co_u32 v9, s1, v7, s46
	v_add_nc_u64_e32 v[16:17], 1, v[10:11]
	v_subrev_co_ci_u32_e64 v3, null, 0, v3, s1
	s_delay_alu instid0(VALU_DEP_3) | instskip(SKIP_1) | instid1(VALU_DEP_3)
	v_cmp_le_u32_e32 vcc_lo, s46, v9
	v_cndmask_b32_e64 v9, 0, -1, vcc_lo
	v_cmp_le_u32_e32 vcc_lo, s47, v3
	v_cndmask_b32_e64 v14, 0, -1, vcc_lo
	;; [unrolled: 2-line block ×4, first 2 shown]
	v_cmp_eq_u32_e32 vcc_lo, s47, v3
	v_cndmask_b32_e32 v3, v14, v9, vcc_lo
	v_cmp_eq_u32_e32 vcc_lo, s47, v13
	v_add_nc_u64_e32 v[14:15], 2, v[10:11]
	v_cndmask_b32_e32 v7, v18, v7, vcc_lo
	s_delay_alu instid0(VALU_DEP_4) | instskip(NEXT) | instid1(VALU_DEP_2)
	v_cmp_ne_u32_e32 vcc_lo, 0, v3
	v_cmp_ne_u32_e64 s1, 0, v7
	s_delay_alu instid0(VALU_DEP_4) | instskip(NEXT) | instid1(VALU_DEP_1)
	v_dual_cndmask_b32 v3, v17, v15, vcc_lo :: v_dual_cndmask_b32 v7, v16, v14, vcc_lo
	v_dual_cndmask_b32 v3, v11, v3, s1 :: v_dual_bitop2_b32 v8, s44, v8 bitop3:0x14
	s_delay_alu instid0(VALU_DEP_1) | instskip(NEXT) | instid1(VALU_DEP_2)
	v_dual_cndmask_b32 v7, v10, v7, s1 :: v_dual_mov_b32 v9, v8
	v_xor_b32_e32 v11, v3, v8
	s_delay_alu instid0(VALU_DEP_2) | instskip(NEXT) | instid1(VALU_DEP_1)
	v_xor_b32_e32 v10, v7, v8
	v_sub_nc_u64_e32 v[8:9], v[10:11], v[8:9]
.LBB0_13:                               ;   in Loop: Header=BB0_3 Depth=1
	s_and_not1_saveexec_b32 s1, s41
	s_cbranch_execz .LBB0_15
; %bb.14:                               ;   in Loop: Header=BB0_3 Depth=1
	v_cvt_f32_u32_e32 v3, s12
	s_sub_co_i32 s24, 0, s12
	s_delay_alu instid0(VALU_DEP_1) | instskip(SKIP_1) | instid1(TRANS32_DEP_1)
	v_rcp_iflag_f32_e32 v3, v3
	v_nop
	v_mul_f32_e32 v3, 0x4f7ffffe, v3
	s_delay_alu instid0(VALU_DEP_1) | instskip(NEXT) | instid1(VALU_DEP_1)
	v_cvt_u32_f32_e32 v3, v3
	v_mul_lo_u32 v7, s24, v3
	s_delay_alu instid0(VALU_DEP_1) | instskip(NEXT) | instid1(VALU_DEP_1)
	v_mul_hi_u32 v7, v3, v7
	v_add_nc_u32_e32 v3, v3, v7
	s_delay_alu instid0(VALU_DEP_1) | instskip(NEXT) | instid1(VALU_DEP_1)
	v_mul_hi_u32 v3, v6, v3
	v_mul_lo_u32 v7, v3, s12
	s_delay_alu instid0(VALU_DEP_1) | instskip(NEXT) | instid1(VALU_DEP_1)
	v_sub_nc_u32_e32 v7, v6, v7
	v_subrev_nc_u32_e32 v9, s12, v7
	v_cmp_le_u32_e32 vcc_lo, s12, v7
	s_delay_alu instid0(VALU_DEP_2) | instskip(NEXT) | instid1(VALU_DEP_1)
	v_dual_cndmask_b32 v7, v7, v9 :: v_dual_add_nc_u32 v8, 1, v3
	v_dual_cndmask_b32 v3, v3, v8, vcc_lo :: v_dual_mov_b32 v9, v2
	s_delay_alu instid0(VALU_DEP_2) | instskip(NEXT) | instid1(VALU_DEP_2)
	v_cmp_le_u32_e32 vcc_lo, s12, v7
	v_add_nc_u32_e32 v8, 1, v3
	s_delay_alu instid0(VALU_DEP_1)
	v_cndmask_b32_e32 v8, v3, v8, vcc_lo
.LBB0_15:                               ;   in Loop: Header=BB0_3 Depth=1
	s_or_b32 exec_lo, exec_lo, s1
	s_delay_alu instid0(VALU_DEP_1) | instskip(SKIP_2) | instid1(VALU_DEP_3)
	v_mul_lo_u32 v3, v8, s12
	v_mul_lo_u32 v7, v6, s26
	v_mov_b64_e32 v[10:11], 0
	v_sub_nc_u32_e32 v3, v6, v3
	s_delay_alu instid0(VALU_DEP_3) | instskip(NEXT) | instid1(VALU_DEP_1)
	v_sub_nc_u32_e32 v6, v4, v7
	v_mul_lo_u32 v6, s17, v6
	s_delay_alu instid0(VALU_DEP_1) | instskip(NEXT) | instid1(VALU_DEP_1)
	v_subrev_nc_u32_e32 v13, s19, v6
	v_max_i32_e32 v6, 0, v13
	v_mul_lo_u32 v3, s16, v3
	v_add_min_i32_e64 v16, v13, s15, s48
	s_delay_alu instid0(VALU_DEP_1) | instskip(NEXT) | instid1(VALU_DEP_1)
	v_min_i32_e32 v18, s10, v16
	v_cmp_gt_i32_e64 s1, v18, v6
	s_delay_alu instid0(VALU_DEP_4) | instskip(NEXT) | instid1(VALU_DEP_1)
	v_subrev_nc_u32_e32 v3, s18, v3
	v_add_min_i32_e64 v15, v3, s14, s33
	v_max_i32_e32 v14, 0, v3
	s_delay_alu instid0(VALU_DEP_2) | instskip(NEXT) | instid1(VALU_DEP_1)
	v_min_i32_e32 v17, s8, v15
	v_cmp_gt_i32_e32 vcc_lo, v17, v14
	s_and_b32 s24, s1, vcc_lo
	s_delay_alu instid0(SALU_CYCLE_1)
	s_and_saveexec_b32 s1, s24
	s_cbranch_execz .LBB0_2
; %bb.16:                               ;   in Loop: Header=BB0_3 Depth=1
	v_mov_b32_e32 v7, v2
	v_lshlrev_b64_e32 v[4:5], 3, v[4:5]
	s_mov_b32 s24, 0
	s_delay_alu instid0(VALU_DEP_2) | instskip(NEXT) | instid1(VALU_DEP_1)
	v_mad_nc_u64_u32 v[10:11], s10, v14, v[6:7]
	v_mad_u32 v11, s11, v14, v11
	s_delay_alu instid0(VALU_DEP_1) | instskip(NEXT) | instid1(VALU_DEP_1)
	v_lshlrev_b64_e32 v[10:11], 3, v[10:11]
	v_mad_nc_u64_u32 v[10:11], s30, v8, v[10:11]
	s_delay_alu instid0(VALU_DEP_1) | instskip(NEXT) | instid1(VALU_DEP_1)
	v_mad_u32 v7, s31, v8, v11
	v_mad_u32 v11, s30, v9, v7
	v_lshlrev_b64_e32 v[8:9], 3, v[0:1]
	v_mov_b32_e32 v7, v14
	s_delay_alu instid0(VALU_DEP_3) | instskip(NEXT) | instid1(VALU_DEP_1)
	v_sub_nc_u64_e32 v[4:5], v[10:11], v[4:5]
	v_mad_nc_u64_u32 v[8:9], s6, v4, v[8:9]
	s_delay_alu instid0(VALU_DEP_1) | instskip(NEXT) | instid1(VALU_DEP_1)
	v_mad_u32 v4, s7, v4, v9
	v_mad_u32 v9, s6, v5, v4
	v_mov_b64_e32 v[4:5], 0
	s_delay_alu instid0(VALU_DEP_2)
	v_add_nc_u64_e32 v[8:9], s[4:5], v[8:9]
.LBB0_17:                               ;   Parent Loop BB0_3 Depth=1
                                        ; =>  This Loop Header: Depth=2
                                        ;       Child Loop BB0_18 Depth 3
	s_delay_alu instid0(VALU_DEP_1)
	v_mov_b64_e32 v[10:11], v[8:9]
	v_mov_b32_e32 v19, v6
	s_mov_b32 s41, 0
.LBB0_18:                               ;   Parent Loop BB0_3 Depth=1
                                        ;     Parent Loop BB0_17 Depth=2
                                        ; =>    This Inner Loop Header: Depth=3
	global_load_b64 v[20:21], v[10:11], off
	s_wait_xcnt 0x0
	v_add_nc_u64_e32 v[10:11], s[38:39], v[10:11]
	v_add_nc_u32_e32 v19, 1, v19
	s_delay_alu instid0(VALU_DEP_1)
	v_cmp_ge_i32_e32 vcc_lo, v19, v18
	s_or_b32 s41, vcc_lo, s41
	s_wait_loadcnt 0x0
	v_add_f64_e32 v[4:5], v[4:5], v[20:21]
	s_and_not1_b32 exec_lo, exec_lo, s41
	s_cbranch_execnz .LBB0_18
; %bb.19:                               ;   in Loop: Header=BB0_17 Depth=2
	s_or_b32 exec_lo, exec_lo, s41
	v_add_nc_u32_e32 v7, 1, v7
	v_add_nc_u64_e32 v[8:9], s[34:35], v[8:9]
	s_delay_alu instid0(VALU_DEP_2) | instskip(SKIP_1) | instid1(SALU_CYCLE_1)
	v_cmp_ge_i32_e32 vcc_lo, v7, v17
	s_or_b32 s24, vcc_lo, s24
	s_and_not1_b32 exec_lo, exec_lo, s24
	s_cbranch_execnz .LBB0_17
; %bb.20:                               ;   in Loop: Header=BB0_3 Depth=1
	s_or_b32 exec_lo, exec_lo, s24
	v_dual_sub_nc_u32 v3, v15, v3 :: v_dual_sub_nc_u32 v7, v16, v13
	v_sub_nc_u32_e32 v6, v18, v6
	s_delay_alu instid0(VALU_DEP_2) | instskip(SKIP_1) | instid1(VALU_DEP_1)
	v_mul_lo_u32 v3, v3, v7
	v_sub_nc_u32_e32 v8, v17, v14
	v_mul_lo_u32 v6, v8, v6
	s_delay_alu instid0(VALU_DEP_1) | instskip(NEXT) | instid1(VALU_DEP_1)
	v_cndmask_b32_e64 v3, v6, v3, s0
	v_cndmask_b32_e64 v3, v3, s22, s23
	s_delay_alu instid0(VALU_DEP_1) | instskip(NEXT) | instid1(VALU_DEP_1)
	v_cvt_f64_i32_e32 v[6:7], v3
	v_div_scale_f64 v[8:9], null, v[6:7], v[6:7], v[4:5]
	s_delay_alu instid0(VALU_DEP_1) | instskip(SKIP_1) | instid1(TRANS32_DEP_1)
	v_rcp_f64_e32 v[10:11], v[8:9]
	v_nop
	v_fma_f64 v[14:15], -v[8:9], v[10:11], 1.0
	s_delay_alu instid0(VALU_DEP_1) | instskip(NEXT) | instid1(VALU_DEP_1)
	v_fmac_f64_e32 v[10:11], v[10:11], v[14:15]
	v_fma_f64 v[14:15], -v[8:9], v[10:11], 1.0
	s_delay_alu instid0(VALU_DEP_1) | instskip(SKIP_1) | instid1(VALU_DEP_1)
	v_fmac_f64_e32 v[10:11], v[10:11], v[14:15]
	v_div_scale_f64 v[14:15], vcc_lo, v[4:5], v[6:7], v[4:5]
	v_mul_f64_e32 v[16:17], v[14:15], v[10:11]
	s_delay_alu instid0(VALU_DEP_1) | instskip(NEXT) | instid1(VALU_DEP_1)
	v_fma_f64 v[8:9], -v[8:9], v[16:17], v[14:15]
	v_div_fmas_f64 v[8:9], v[8:9], v[10:11], v[16:17]
	s_delay_alu instid0(VALU_DEP_1)
	v_div_fixup_f64 v[10:11], v[8:9], v[6:7], v[4:5]
	s_branch .LBB0_2
.LBB0_21:
	s_endpgm
	.section	.rodata,"a",@progbits
	.p2align	6, 0x0
	.amdhsa_kernel _ZN2at6native12_GLOBAL__N_130avg_pool2d_out_cuda_frame_nhwcIddEEviPKT_llliiiiiiiiPS3_ibb
		.amdhsa_group_segment_fixed_size 0
		.amdhsa_private_segment_fixed_size 0
		.amdhsa_kernarg_size 344
		.amdhsa_user_sgpr_count 2
		.amdhsa_user_sgpr_dispatch_ptr 0
		.amdhsa_user_sgpr_queue_ptr 0
		.amdhsa_user_sgpr_kernarg_segment_ptr 1
		.amdhsa_user_sgpr_dispatch_id 0
		.amdhsa_user_sgpr_kernarg_preload_length 0
		.amdhsa_user_sgpr_kernarg_preload_offset 0
		.amdhsa_user_sgpr_private_segment_size 0
		.amdhsa_wavefront_size32 1
		.amdhsa_uses_dynamic_stack 0
		.amdhsa_enable_private_segment 0
		.amdhsa_system_sgpr_workgroup_id_x 1
		.amdhsa_system_sgpr_workgroup_id_y 0
		.amdhsa_system_sgpr_workgroup_id_z 0
		.amdhsa_system_sgpr_workgroup_info 0
		.amdhsa_system_vgpr_workitem_id 0
		.amdhsa_next_free_vgpr 24
		.amdhsa_next_free_sgpr 58
		.amdhsa_named_barrier_count 0
		.amdhsa_reserve_vcc 1
		.amdhsa_float_round_mode_32 0
		.amdhsa_float_round_mode_16_64 0
		.amdhsa_float_denorm_mode_32 3
		.amdhsa_float_denorm_mode_16_64 3
		.amdhsa_fp16_overflow 0
		.amdhsa_memory_ordered 1
		.amdhsa_forward_progress 1
		.amdhsa_inst_pref_size 24
		.amdhsa_round_robin_scheduling 0
		.amdhsa_exception_fp_ieee_invalid_op 0
		.amdhsa_exception_fp_denorm_src 0
		.amdhsa_exception_fp_ieee_div_zero 0
		.amdhsa_exception_fp_ieee_overflow 0
		.amdhsa_exception_fp_ieee_underflow 0
		.amdhsa_exception_fp_ieee_inexact 0
		.amdhsa_exception_int_div_zero 0
	.end_amdhsa_kernel
	.section	.text._ZN2at6native12_GLOBAL__N_130avg_pool2d_out_cuda_frame_nhwcIddEEviPKT_llliiiiiiiiPS3_ibb,"axG",@progbits,_ZN2at6native12_GLOBAL__N_130avg_pool2d_out_cuda_frame_nhwcIddEEviPKT_llliiiiiiiiPS3_ibb,comdat
.Lfunc_end0:
	.size	_ZN2at6native12_GLOBAL__N_130avg_pool2d_out_cuda_frame_nhwcIddEEviPKT_llliiiiiiiiPS3_ibb, .Lfunc_end0-_ZN2at6native12_GLOBAL__N_130avg_pool2d_out_cuda_frame_nhwcIddEEviPKT_llliiiiiiiiPS3_ibb
                                        ; -- End function
	.set _ZN2at6native12_GLOBAL__N_130avg_pool2d_out_cuda_frame_nhwcIddEEviPKT_llliiiiiiiiPS3_ibb.num_vgpr, 24
	.set _ZN2at6native12_GLOBAL__N_130avg_pool2d_out_cuda_frame_nhwcIddEEviPKT_llliiiiiiiiPS3_ibb.num_agpr, 0
	.set _ZN2at6native12_GLOBAL__N_130avg_pool2d_out_cuda_frame_nhwcIddEEviPKT_llliiiiiiiiPS3_ibb.numbered_sgpr, 58
	.set _ZN2at6native12_GLOBAL__N_130avg_pool2d_out_cuda_frame_nhwcIddEEviPKT_llliiiiiiiiPS3_ibb.num_named_barrier, 0
	.set _ZN2at6native12_GLOBAL__N_130avg_pool2d_out_cuda_frame_nhwcIddEEviPKT_llliiiiiiiiPS3_ibb.private_seg_size, 0
	.set _ZN2at6native12_GLOBAL__N_130avg_pool2d_out_cuda_frame_nhwcIddEEviPKT_llliiiiiiiiPS3_ibb.uses_vcc, 1
	.set _ZN2at6native12_GLOBAL__N_130avg_pool2d_out_cuda_frame_nhwcIddEEviPKT_llliiiiiiiiPS3_ibb.uses_flat_scratch, 0
	.set _ZN2at6native12_GLOBAL__N_130avg_pool2d_out_cuda_frame_nhwcIddEEviPKT_llliiiiiiiiPS3_ibb.has_dyn_sized_stack, 0
	.set _ZN2at6native12_GLOBAL__N_130avg_pool2d_out_cuda_frame_nhwcIddEEviPKT_llliiiiiiiiPS3_ibb.has_recursion, 0
	.set _ZN2at6native12_GLOBAL__N_130avg_pool2d_out_cuda_frame_nhwcIddEEviPKT_llliiiiiiiiPS3_ibb.has_indirect_call, 0
	.section	.AMDGPU.csdata,"",@progbits
; Kernel info:
; codeLenInByte = 3044
; TotalNumSgprs: 60
; NumVgprs: 24
; ScratchSize: 0
; MemoryBound: 0
; FloatMode: 240
; IeeeMode: 1
; LDSByteSize: 0 bytes/workgroup (compile time only)
; SGPRBlocks: 0
; VGPRBlocks: 1
; NumSGPRsForWavesPerEU: 60
; NumVGPRsForWavesPerEU: 24
; NamedBarCnt: 0
; Occupancy: 16
; WaveLimiterHint : 0
; COMPUTE_PGM_RSRC2:SCRATCH_EN: 0
; COMPUTE_PGM_RSRC2:USER_SGPR: 2
; COMPUTE_PGM_RSRC2:TRAP_HANDLER: 0
; COMPUTE_PGM_RSRC2:TGID_X_EN: 1
; COMPUTE_PGM_RSRC2:TGID_Y_EN: 0
; COMPUTE_PGM_RSRC2:TGID_Z_EN: 0
; COMPUTE_PGM_RSRC2:TIDIG_COMP_CNT: 0
	.section	.text._ZN2at6native12_GLOBAL__N_125avg_pool2d_out_cuda_frameIddEEviPKT_lllliiiiiiiPS3_ibb,"axG",@progbits,_ZN2at6native12_GLOBAL__N_125avg_pool2d_out_cuda_frameIddEEviPKT_lllliiiiiiiPS3_ibb,comdat
	.globl	_ZN2at6native12_GLOBAL__N_125avg_pool2d_out_cuda_frameIddEEviPKT_lllliiiiiiiPS3_ibb ; -- Begin function _ZN2at6native12_GLOBAL__N_125avg_pool2d_out_cuda_frameIddEEviPKT_lllliiiiiiiPS3_ibb
	.p2align	8
	.type	_ZN2at6native12_GLOBAL__N_125avg_pool2d_out_cuda_frameIddEEviPKT_lllliiiiiiiPS3_ibb,@function
_ZN2at6native12_GLOBAL__N_125avg_pool2d_out_cuda_frameIddEEviPKT_lllliiiiiiiPS3_ibb: ; @_ZN2at6native12_GLOBAL__N_125avg_pool2d_out_cuda_frameIddEEviPKT_lllliiiiiiiPS3_ibb
; %bb.0:
	s_clause 0x1
	s_load_b32 s20, s[0:1], 0x0
	s_load_b32 s2, s[0:1], 0x6c
	s_bfe_u32 s3, ttmp6, 0x4000c
	s_and_b32 s4, ttmp6, 15
	s_add_co_i32 s3, s3, 1
	s_getreg_b32 s5, hwreg(HW_REG_IB_STS2, 6, 4)
	s_mul_i32 s3, ttmp9, s3
	v_mov_b32_e32 v1, 0
	s_add_co_i32 s4, s4, s3
	s_mov_b32 s23, 0
	s_wait_kmcnt 0x0
	s_ashr_i32 s21, s20, 31
	s_and_b32 s22, s2, 0xffff
	s_cmp_eq_u32 s5, 0
	s_cselect_b32 s2, ttmp9, s4
	s_delay_alu instid0(SALU_CYCLE_1) | instskip(SKIP_1) | instid1(VALU_DEP_1)
	v_mad_nc_u64_u32 v[2:3], s22, s2, v[0:1]
	s_mov_b32 s2, exec_lo
	v_cmpx_gt_i64_e64 s[20:21], v[2:3]
	s_cbranch_execz .LBB1_13
; %bb.1:
	s_clause 0x3
	s_load_b64 s[24:25], s[0:1], 0x28
	s_load_b128 s[4:7], s[0:1], 0x50
	s_load_b32 s3, s[0:1], 0x5c
	s_load_b128 s[8:11], s[0:1], 0x30
	s_add_nc_u64 s[26:27], s[0:1], 0x60
	s_load_b96 s[16:18], s[0:1], 0x40
	s_load_b32 s28, s[26:27], 0x0
	s_load_b128 s[12:15], s[0:1], 0x18
	s_mov_b32 s31, s23
	s_mov_b64 s[34:35], 0xffffffff
	s_wait_kmcnt 0x0
	v_cvt_f32_u32_e32 v0, s24
	s_bitcmp1_b32 s7, 0
	s_cselect_b32 s2, -1, 0
	s_bitcmp1_b32 s3, 8
	s_delay_alu instid0(VALU_DEP_1)
	v_rcp_iflag_f32_e32 v0, v0
	s_cselect_b32 s3, -1, 0
	s_abs_i32 s7, s8
	s_mul_i32 s28, s28, s22
	s_cvt_f32_u32 s19, s7
	s_ashr_i32 s33, s8, 31
	s_ashr_i32 s40, s25, 31
	v_nop
	v_mul_f32_e32 v0, 0x4f7ffffe, v0
	v_rcp_iflag_f32_e32 v4, s19
	s_sub_co_i32 s19, 0, s24
	s_delay_alu instid0(VALU_DEP_1) | instskip(NEXT) | instid1(TRANS32_DEP_1)
	v_cvt_u32_f32_e32 v0, v0
	v_readfirstlane_b32 s26, v4
	s_delay_alu instid0(VALU_DEP_2)
	v_mul_lo_u32 v4, s19, v0
	s_mul_f32 s29, s26, 0x4f7ffffe
	s_load_b64 s[26:27], s[0:1], 0x8
	s_wait_xcnt 0x0
	s_add_co_i32 s1, s17, s12
	s_add_co_i32 s19, s18, s14
	s_cvt_u32_f32 s0, s29
	s_sub_co_i32 s29, 0, s7
	s_lshl_b64 s[36:37], s[12:13], 3
	s_lshl_b64 s[38:39], s[14:15], 3
	s_delay_alu instid0(VALU_DEP_1)
	v_mul_hi_u32 v4, v0, v4
	s_mul_i32 s22, s29, s0
	s_mov_b32 s29, s23
	s_mul_hi_u32 s22, s0, s22
	s_mov_b32 s13, 0
	s_add_co_i32 s30, s0, s22
	s_delay_alu instid0(VALU_DEP_1)
	v_add_nc_u32_e32 v12, v0, v4
	s_branch .LBB1_3
.LBB1_2:                                ;   in Loop: Header=BB1_3 Depth=1
	s_or_b32 exec_lo, exec_lo, s0
	v_lshl_add_u64 v[4:5], v[2:3], 3, s[4:5]
	v_add_nc_u64_e32 v[2:3], s[28:29], v[2:3]
	global_store_b64 v[4:5], v[8:9], off
	v_cmp_le_i64_e32 vcc_lo, s[20:21], v[2:3]
	s_or_b32 s13, vcc_lo, s13
	s_wait_xcnt 0x0
	s_and_not1_b32 exec_lo, exec_lo, s13
	s_cbranch_execz .LBB1_13
.LBB1_3:                                ; =>This Loop Header: Depth=1
                                        ;     Child Loop BB1_9 Depth 2
                                        ;       Child Loop BB1_10 Depth 3
	v_sub_nc_u32_e32 v0, 0, v2
	s_delay_alu instid0(VALU_DEP_1) | instskip(NEXT) | instid1(VALU_DEP_1)
	v_max_i32_e32 v0, v2, v0
	v_mul_u64_e32 v[4:5], s[30:31], v[0:1]
	s_delay_alu instid0(VALU_DEP_1) | instskip(NEXT) | instid1(VALU_DEP_1)
	v_mul_lo_u32 v4, v5, s7
	v_dual_sub_nc_u32 v0, v0, v4 :: v_dual_add_nc_u32 v4, 1, v5
	s_delay_alu instid0(VALU_DEP_1) | instskip(NEXT) | instid1(VALU_DEP_2)
	v_cmp_le_u32_e32 vcc_lo, s7, v0
	v_cndmask_b32_e32 v4, v5, v4, vcc_lo
	v_subrev_nc_u32_e32 v6, s7, v0
	v_ashrrev_i32_e32 v5, 31, v2
	s_delay_alu instid0(VALU_DEP_2) | instskip(NEXT) | instid1(VALU_DEP_1)
	v_dual_cndmask_b32 v0, v0, v6, vcc_lo :: v_dual_add_nc_u32 v6, 1, v4
	v_cmp_le_u32_e32 vcc_lo, s7, v0
	s_delay_alu instid0(VALU_DEP_2) | instskip(NEXT) | instid1(VALU_DEP_1)
	v_dual_cndmask_b32 v0, v4, v6, vcc_lo :: v_dual_bitop2_b32 v5, s33, v5 bitop3:0x14
	v_dual_mov_b32 v6, v1 :: v_dual_bitop2_b32 v0, v0, v5 bitop3:0x14
	s_delay_alu instid0(VALU_DEP_1) | instskip(NEXT) | instid1(VALU_DEP_1)
	v_sub_nc_u32_e32 v4, v0, v5
	v_ashrrev_i32_e32 v5, 31, v4
	s_delay_alu instid0(VALU_DEP_1) | instskip(NEXT) | instid1(VALU_DEP_1)
	v_or_b32_e32 v7, s25, v5
	v_cmp_ne_u64_e32 vcc_lo, 0, v[6:7]
                                        ; implicit-def: $vgpr6_vgpr7
	s_and_saveexec_b32 s0, vcc_lo
	s_delay_alu instid0(SALU_CYCLE_1)
	s_xor_b32 s44, exec_lo, s0
	s_cbranch_execz .LBB1_5
; %bb.4:                                ;   in Loop: Header=BB1_3 Depth=1
	s_mov_b32 s41, s40
	v_dual_mov_b32 v15, v1 :: v_dual_ashrrev_i32 v6, 31, v5
	s_add_nc_u64 s[42:43], s[24:25], s[40:41]
	s_delay_alu instid0(SALU_CYCLE_1) | instskip(NEXT) | instid1(VALU_DEP_1)
	s_xor_b64 s[42:43], s[42:43], s[40:41]
	v_mov_b32_e32 v7, v6
	s_cvt_f32_u32 s0, s42
	s_cvt_f32_u32 s22, s43
	s_sub_nc_u64 s[48:49], 0, s[42:43]
	s_delay_alu instid0(VALU_DEP_1) | instskip(NEXT) | instid1(SALU_CYCLE_1)
	v_add_nc_u64_e32 v[8:9], v[4:5], v[6:7]
	s_fmamk_f32 s0, s22, 0x4f800000, s0
	s_delay_alu instid0(SALU_CYCLE_3) | instskip(NEXT) | instid1(VALU_DEP_1)
	v_s_rcp_f32 s0, s0
	v_xor_b32_e32 v0, v8, v6
	s_delay_alu instid0(VALU_DEP_2) | instskip(SKIP_1) | instid1(TRANS32_DEP_1)
	v_xor_b32_e32 v14, v9, v6
	v_mov_b32_e32 v19, v1
	s_mul_f32 s0, s0, 0x5f7ffffc
	s_delay_alu instid0(SALU_CYCLE_3) | instskip(NEXT) | instid1(SALU_CYCLE_3)
	s_mul_f32 s22, s0, 0x2f800000
	s_trunc_f32 s22, s22
	s_delay_alu instid0(SALU_CYCLE_3) | instskip(SKIP_1) | instid1(SALU_CYCLE_2)
	s_fmamk_f32 s0, s22, 0xcf800000, s0
	s_cvt_u32_f32 s47, s22
	s_cvt_u32_f32 s46, s0
	s_delay_alu instid0(SALU_CYCLE_3) | instskip(NEXT) | instid1(SALU_CYCLE_1)
	s_mul_u64 s[50:51], s[48:49], s[46:47]
	s_mul_hi_u32 s53, s46, s51
	s_mul_i32 s52, s46, s51
	s_mul_hi_u32 s22, s46, s50
	s_mul_i32 s41, s47, s50
	s_add_nc_u64 s[52:53], s[22:23], s[52:53]
	s_mul_hi_u32 s0, s47, s50
	s_mul_hi_u32 s45, s47, s51
	s_add_co_u32 s22, s52, s41
	s_add_co_ci_u32 s22, s53, s0
	s_mul_i32 s50, s47, s51
	s_add_co_ci_u32 s51, s45, 0
	s_delay_alu instid0(SALU_CYCLE_1) | instskip(NEXT) | instid1(SALU_CYCLE_1)
	s_add_nc_u64 s[50:51], s[22:23], s[50:51]
	s_add_co_u32 s46, s46, s50
	s_cselect_b32 s0, -1, 0
	s_delay_alu instid0(SALU_CYCLE_1) | instskip(SKIP_1) | instid1(SALU_CYCLE_1)
	s_cmp_lg_u32 s0, 0
	s_add_co_ci_u32 s47, s47, s51
	s_mul_u64 s[48:49], s[48:49], s[46:47]
	s_delay_alu instid0(SALU_CYCLE_1)
	s_mul_hi_u32 s51, s46, s49
	s_mul_i32 s50, s46, s49
	s_mul_hi_u32 s22, s46, s48
	s_mul_i32 s41, s47, s48
	s_add_nc_u64 s[50:51], s[22:23], s[50:51]
	s_mul_hi_u32 s0, s47, s48
	s_mul_hi_u32 s45, s47, s49
	s_add_co_u32 s22, s50, s41
	s_add_co_ci_u32 s22, s51, s0
	s_mul_i32 s48, s47, s49
	s_add_co_ci_u32 s49, s45, 0
	s_delay_alu instid0(SALU_CYCLE_1) | instskip(NEXT) | instid1(SALU_CYCLE_1)
	s_add_nc_u64 s[48:49], s[22:23], s[48:49]
	s_add_co_u32 s0, s46, s48
	s_cselect_b32 s22, -1, 0
	v_mul_hi_u32 v18, v0, s0
	s_cmp_lg_u32 s22, 0
	s_add_co_ci_u32 s22, s47, s49
	s_and_b64 s[46:47], s[0:1], s[34:35]
	v_mul_u64_e32 v[10:11], s[22:23], v[0:1]
	v_mul_u64_e32 v[8:9], s[46:47], v[14:15]
	;; [unrolled: 1-line block ×3, first 2 shown]
	s_delay_alu instid0(VALU_DEP_3) | instskip(NEXT) | instid1(VALU_DEP_1)
	v_add_nc_u64_e32 v[10:11], v[18:19], v[10:11]
	v_add_co_u32 v5, vcc_lo, v10, v8
	s_delay_alu instid0(VALU_DEP_2) | instskip(NEXT) | instid1(VALU_DEP_4)
	v_add_co_ci_u32_e32 v18, vcc_lo, v11, v9, vcc_lo
	v_add_co_ci_u32_e32 v17, vcc_lo, 0, v17, vcc_lo
	s_delay_alu instid0(VALU_DEP_1) | instskip(NEXT) | instid1(VALU_DEP_1)
	v_add_nc_u64_e32 v[8:9], v[18:19], v[16:17]
	v_mul_u64_e32 v[10:11], s[42:43], v[8:9]
	s_delay_alu instid0(VALU_DEP_1) | instskip(NEXT) | instid1(VALU_DEP_2)
	v_sub_nc_u32_e32 v5, v14, v11
	v_sub_co_u32 v0, vcc_lo, v0, v10
	s_delay_alu instid0(VALU_DEP_1) | instskip(NEXT) | instid1(VALU_DEP_3)
	v_sub_co_ci_u32_e64 v13, null, v14, v11, vcc_lo
	v_subrev_co_ci_u32_e64 v5, null, s43, v5, vcc_lo
	s_delay_alu instid0(VALU_DEP_3) | instskip(SKIP_1) | instid1(VALU_DEP_3)
	v_sub_co_u32 v7, s0, v0, s42
	v_add_nc_u64_e32 v[14:15], 1, v[8:9]
	v_subrev_co_ci_u32_e64 v5, null, 0, v5, s0
	s_delay_alu instid0(VALU_DEP_3) | instskip(SKIP_1) | instid1(VALU_DEP_3)
	v_cmp_le_u32_e32 vcc_lo, s42, v7
	v_cndmask_b32_e64 v7, 0, -1, vcc_lo
	v_cmp_le_u32_e32 vcc_lo, s43, v5
	v_cndmask_b32_e64 v10, 0, -1, vcc_lo
	v_cmp_le_u32_e32 vcc_lo, s42, v0
	v_cndmask_b32_e64 v0, 0, -1, vcc_lo
	v_cmp_le_u32_e32 vcc_lo, s43, v13
	v_cndmask_b32_e64 v16, 0, -1, vcc_lo
	v_cmp_eq_u32_e32 vcc_lo, s43, v5
	v_cndmask_b32_e32 v5, v10, v7, vcc_lo
	v_cmp_eq_u32_e32 vcc_lo, s43, v13
	v_add_nc_u64_e32 v[10:11], 2, v[8:9]
	v_cndmask_b32_e32 v0, v16, v0, vcc_lo
	s_delay_alu instid0(VALU_DEP_4) | instskip(NEXT) | instid1(VALU_DEP_3)
	v_cmp_ne_u32_e32 vcc_lo, 0, v5
	v_cndmask_b32_e32 v5, v15, v11, vcc_lo
	s_delay_alu instid0(VALU_DEP_3) | instskip(NEXT) | instid1(VALU_DEP_1)
	v_cmp_ne_u32_e64 s0, 0, v0
	v_dual_cndmask_b32 v0, v14, v10, vcc_lo :: v_dual_cndmask_b32 v5, v9, v5, s0
	s_delay_alu instid0(VALU_DEP_1) | instskip(NEXT) | instid1(VALU_DEP_1)
	v_dual_cndmask_b32 v0, v8, v0, s0 :: v_dual_bitop2_b32 v6, s40, v6 bitop3:0x14
	v_dual_mov_b32 v7, v6 :: v_dual_bitop2_b32 v9, v5, v6 bitop3:0x14
	s_delay_alu instid0(VALU_DEP_2) | instskip(NEXT) | instid1(VALU_DEP_1)
	v_xor_b32_e32 v8, v0, v6
	v_sub_nc_u64_e32 v[6:7], v[8:9], v[6:7]
.LBB1_5:                                ;   in Loop: Header=BB1_3 Depth=1
	s_and_not1_saveexec_b32 s0, s44
	s_cbranch_execz .LBB1_7
; %bb.6:                                ;   in Loop: Header=BB1_3 Depth=1
	v_mul_hi_u32 v0, v4, v12
	s_delay_alu instid0(VALU_DEP_1) | instskip(NEXT) | instid1(VALU_DEP_1)
	v_mul_lo_u32 v5, v0, s24
	v_dual_add_nc_u32 v6, 1, v0 :: v_dual_sub_nc_u32 v5, v4, v5
	s_delay_alu instid0(VALU_DEP_1) | instskip(SKIP_1) | instid1(VALU_DEP_2)
	v_subrev_nc_u32_e32 v7, s24, v5
	v_cmp_le_u32_e32 vcc_lo, s24, v5
	v_dual_cndmask_b32 v5, v5, v7 :: v_dual_cndmask_b32 v0, v0, v6
	s_delay_alu instid0(VALU_DEP_1) | instskip(NEXT) | instid1(VALU_DEP_2)
	v_cmp_le_u32_e32 vcc_lo, s24, v5
	v_add_nc_u32_e32 v6, 1, v0
	s_delay_alu instid0(VALU_DEP_1) | instskip(NEXT) | instid1(VALU_DEP_1)
	v_cndmask_b32_e32 v0, v0, v6, vcc_lo
	v_mov_b64_e32 v[6:7], v[0:1]
.LBB1_7:                                ;   in Loop: Header=BB1_3 Depth=1
	s_or_b32 exec_lo, exec_lo, s0
	s_delay_alu instid0(VALU_DEP_1) | instskip(SKIP_2) | instid1(VALU_DEP_2)
	v_mul_lo_u32 v0, v6, s24
	v_mul_lo_u32 v5, v4, s8
	v_mov_b64_e32 v[8:9], 0
	v_dual_sub_nc_u32 v0, v4, v0 :: v_dual_sub_nc_u32 v4, v2, v5
	s_delay_alu instid0(VALU_DEP_1) | instskip(NEXT) | instid1(VALU_DEP_2)
	v_mul_lo_u32 v0, s11, v0
	v_mul_lo_u32 v4, v4, s16
	s_delay_alu instid0(VALU_DEP_2) | instskip(NEXT) | instid1(VALU_DEP_2)
	v_subrev_nc_u32_e32 v13, s17, v0
	v_subrev_nc_u32_e32 v14, s18, v4
	s_delay_alu instid0(VALU_DEP_2) | instskip(NEXT) | instid1(VALU_DEP_2)
	v_add_min_i32_e64 v15, v13, s9, s1
	v_add_min_i32_e64 v16, v14, s10, s19
	v_max_i32_e32 v0, 0, v13
	v_max_i32_e32 v4, 0, v14
	s_delay_alu instid0(VALU_DEP_4) | instskip(NEXT) | instid1(VALU_DEP_4)
	v_min_i32_e32 v17, s12, v15
	v_min_i32_e32 v18, s14, v16
	s_delay_alu instid0(VALU_DEP_2) | instskip(NEXT) | instid1(VALU_DEP_2)
	v_cmp_gt_i32_e32 vcc_lo, v17, v0
	v_cmp_gt_i32_e64 s0, v18, v4
	s_and_b32 s22, s0, vcc_lo
	s_delay_alu instid0(SALU_CYCLE_1)
	s_and_saveexec_b32 s0, s22
	s_cbranch_execz .LBB1_2
; %bb.8:                                ;   in Loop: Header=BB1_3 Depth=1
	v_lshlrev_b64_e32 v[8:9], 3, v[0:1]
	v_mov_b32_e32 v5, v1
	s_mov_b32 s22, 0
	s_delay_alu instid0(VALU_DEP_1) | instskip(NEXT) | instid1(VALU_DEP_3)
	v_lshlrev_b64_e32 v[10:11], 3, v[4:5]
	v_mad_nc_u64_u32 v[8:9], s36, v6, v[8:9]
	s_delay_alu instid0(VALU_DEP_1) | instskip(NEXT) | instid1(VALU_DEP_2)
	v_mad_u32 v5, s37, v6, v9
	v_mad_nc_u64_u32 v[10:11], s14, v8, v[10:11]
	s_delay_alu instid0(VALU_DEP_2) | instskip(NEXT) | instid1(VALU_DEP_2)
	v_mad_u32 v5, s36, v7, v5
	v_mad_u32 v6, s15, v8, v11
	s_delay_alu instid0(VALU_DEP_1) | instskip(SKIP_3) | instid1(VALU_DEP_3)
	v_mad_u32 v11, s14, v5, v6
	v_mov_b64_e32 v[6:7], 0
	v_mov_b32_e32 v5, v0
	s_wait_kmcnt 0x0
	v_add_nc_u64_e32 v[8:9], s[26:27], v[10:11]
.LBB1_9:                                ;   Parent Loop BB1_3 Depth=1
                                        ; =>  This Loop Header: Depth=2
                                        ;       Child Loop BB1_10 Depth 3
	s_delay_alu instid0(VALU_DEP_1)
	v_mov_b64_e32 v[10:11], v[8:9]
	v_mov_b32_e32 v19, v4
	s_mov_b32 s41, 0
.LBB1_10:                               ;   Parent Loop BB1_3 Depth=1
                                        ;     Parent Loop BB1_9 Depth=2
                                        ; =>    This Inner Loop Header: Depth=3
	global_load_b64 v[20:21], v[10:11], off
	s_wait_xcnt 0x0
	v_add_nc_u64_e32 v[10:11], 8, v[10:11]
	v_add_nc_u32_e32 v19, 1, v19
	s_delay_alu instid0(VALU_DEP_1)
	v_cmp_ge_i32_e32 vcc_lo, v19, v18
	s_or_b32 s41, vcc_lo, s41
	s_wait_loadcnt 0x0
	v_add_f64_e32 v[6:7], v[6:7], v[20:21]
	s_and_not1_b32 exec_lo, exec_lo, s41
	s_cbranch_execnz .LBB1_10
; %bb.11:                               ;   in Loop: Header=BB1_9 Depth=2
	s_or_b32 exec_lo, exec_lo, s41
	v_add_nc_u32_e32 v5, 1, v5
	v_add_nc_u64_e32 v[8:9], s[38:39], v[8:9]
	s_delay_alu instid0(VALU_DEP_2) | instskip(SKIP_1) | instid1(SALU_CYCLE_1)
	v_cmp_ge_i32_e32 vcc_lo, v5, v17
	s_or_b32 s22, vcc_lo, s22
	s_and_not1_b32 exec_lo, exec_lo, s22
	s_cbranch_execnz .LBB1_9
; %bb.12:                               ;   in Loop: Header=BB1_3 Depth=1
	s_or_b32 exec_lo, exec_lo, s22
	v_dual_sub_nc_u32 v5, v15, v13 :: v_dual_sub_nc_u32 v8, v16, v14
	v_sub_nc_u32_e32 v0, v17, v0
	s_delay_alu instid0(VALU_DEP_2) | instskip(SKIP_1) | instid1(VALU_DEP_1)
	v_mul_lo_u32 v5, v5, v8
	v_sub_nc_u32_e32 v4, v18, v4
	v_mul_lo_u32 v0, v0, v4
	s_delay_alu instid0(VALU_DEP_1) | instskip(NEXT) | instid1(VALU_DEP_1)
	v_cndmask_b32_e64 v0, v0, v5, s2
	v_cndmask_b32_e64 v0, v0, s6, s3
	s_delay_alu instid0(VALU_DEP_1) | instskip(NEXT) | instid1(VALU_DEP_1)
	v_cvt_f64_i32_e32 v[4:5], v0
	v_div_scale_f64 v[8:9], null, v[4:5], v[4:5], v[6:7]
	s_delay_alu instid0(VALU_DEP_1) | instskip(SKIP_1) | instid1(TRANS32_DEP_1)
	v_rcp_f64_e32 v[10:11], v[8:9]
	v_nop
	v_fma_f64 v[14:15], -v[8:9], v[10:11], 1.0
	s_delay_alu instid0(VALU_DEP_1) | instskip(NEXT) | instid1(VALU_DEP_1)
	v_fmac_f64_e32 v[10:11], v[10:11], v[14:15]
	v_fma_f64 v[14:15], -v[8:9], v[10:11], 1.0
	s_delay_alu instid0(VALU_DEP_1) | instskip(SKIP_1) | instid1(VALU_DEP_1)
	v_fmac_f64_e32 v[10:11], v[10:11], v[14:15]
	v_div_scale_f64 v[14:15], vcc_lo, v[6:7], v[4:5], v[6:7]
	v_mul_f64_e32 v[16:17], v[14:15], v[10:11]
	s_delay_alu instid0(VALU_DEP_1) | instskip(NEXT) | instid1(VALU_DEP_1)
	v_fma_f64 v[8:9], -v[8:9], v[16:17], v[14:15]
	v_div_fmas_f64 v[8:9], v[8:9], v[10:11], v[16:17]
	s_delay_alu instid0(VALU_DEP_1)
	v_div_fixup_f64 v[8:9], v[8:9], v[4:5], v[6:7]
	s_branch .LBB1_2
.LBB1_13:
	s_endpgm
	.section	.rodata,"a",@progbits
	.p2align	6, 0x0
	.amdhsa_kernel _ZN2at6native12_GLOBAL__N_125avg_pool2d_out_cuda_frameIddEEviPKT_lllliiiiiiiPS3_ibb
		.amdhsa_group_segment_fixed_size 0
		.amdhsa_private_segment_fixed_size 0
		.amdhsa_kernarg_size 352
		.amdhsa_user_sgpr_count 2
		.amdhsa_user_sgpr_dispatch_ptr 0
		.amdhsa_user_sgpr_queue_ptr 0
		.amdhsa_user_sgpr_kernarg_segment_ptr 1
		.amdhsa_user_sgpr_dispatch_id 0
		.amdhsa_user_sgpr_kernarg_preload_length 0
		.amdhsa_user_sgpr_kernarg_preload_offset 0
		.amdhsa_user_sgpr_private_segment_size 0
		.amdhsa_wavefront_size32 1
		.amdhsa_uses_dynamic_stack 0
		.amdhsa_enable_private_segment 0
		.amdhsa_system_sgpr_workgroup_id_x 1
		.amdhsa_system_sgpr_workgroup_id_y 0
		.amdhsa_system_sgpr_workgroup_id_z 0
		.amdhsa_system_sgpr_workgroup_info 0
		.amdhsa_system_vgpr_workitem_id 0
		.amdhsa_next_free_vgpr 22
		.amdhsa_next_free_sgpr 54
		.amdhsa_named_barrier_count 0
		.amdhsa_reserve_vcc 1
		.amdhsa_float_round_mode_32 0
		.amdhsa_float_round_mode_16_64 0
		.amdhsa_float_denorm_mode_32 3
		.amdhsa_float_denorm_mode_16_64 3
		.amdhsa_fp16_overflow 0
		.amdhsa_memory_ordered 1
		.amdhsa_forward_progress 1
		.amdhsa_inst_pref_size 14
		.amdhsa_round_robin_scheduling 0
		.amdhsa_exception_fp_ieee_invalid_op 0
		.amdhsa_exception_fp_denorm_src 0
		.amdhsa_exception_fp_ieee_div_zero 0
		.amdhsa_exception_fp_ieee_overflow 0
		.amdhsa_exception_fp_ieee_underflow 0
		.amdhsa_exception_fp_ieee_inexact 0
		.amdhsa_exception_int_div_zero 0
	.end_amdhsa_kernel
	.section	.text._ZN2at6native12_GLOBAL__N_125avg_pool2d_out_cuda_frameIddEEviPKT_lllliiiiiiiPS3_ibb,"axG",@progbits,_ZN2at6native12_GLOBAL__N_125avg_pool2d_out_cuda_frameIddEEviPKT_lllliiiiiiiPS3_ibb,comdat
.Lfunc_end1:
	.size	_ZN2at6native12_GLOBAL__N_125avg_pool2d_out_cuda_frameIddEEviPKT_lllliiiiiiiPS3_ibb, .Lfunc_end1-_ZN2at6native12_GLOBAL__N_125avg_pool2d_out_cuda_frameIddEEviPKT_lllliiiiiiiPS3_ibb
                                        ; -- End function
	.set _ZN2at6native12_GLOBAL__N_125avg_pool2d_out_cuda_frameIddEEviPKT_lllliiiiiiiPS3_ibb.num_vgpr, 22
	.set _ZN2at6native12_GLOBAL__N_125avg_pool2d_out_cuda_frameIddEEviPKT_lllliiiiiiiPS3_ibb.num_agpr, 0
	.set _ZN2at6native12_GLOBAL__N_125avg_pool2d_out_cuda_frameIddEEviPKT_lllliiiiiiiPS3_ibb.numbered_sgpr, 54
	.set _ZN2at6native12_GLOBAL__N_125avg_pool2d_out_cuda_frameIddEEviPKT_lllliiiiiiiPS3_ibb.num_named_barrier, 0
	.set _ZN2at6native12_GLOBAL__N_125avg_pool2d_out_cuda_frameIddEEviPKT_lllliiiiiiiPS3_ibb.private_seg_size, 0
	.set _ZN2at6native12_GLOBAL__N_125avg_pool2d_out_cuda_frameIddEEviPKT_lllliiiiiiiPS3_ibb.uses_vcc, 1
	.set _ZN2at6native12_GLOBAL__N_125avg_pool2d_out_cuda_frameIddEEviPKT_lllliiiiiiiPS3_ibb.uses_flat_scratch, 0
	.set _ZN2at6native12_GLOBAL__N_125avg_pool2d_out_cuda_frameIddEEviPKT_lllliiiiiiiPS3_ibb.has_dyn_sized_stack, 0
	.set _ZN2at6native12_GLOBAL__N_125avg_pool2d_out_cuda_frameIddEEviPKT_lllliiiiiiiPS3_ibb.has_recursion, 0
	.set _ZN2at6native12_GLOBAL__N_125avg_pool2d_out_cuda_frameIddEEviPKT_lllliiiiiiiPS3_ibb.has_indirect_call, 0
	.section	.AMDGPU.csdata,"",@progbits
; Kernel info:
; codeLenInByte = 1724
; TotalNumSgprs: 56
; NumVgprs: 22
; ScratchSize: 0
; MemoryBound: 0
; FloatMode: 240
; IeeeMode: 1
; LDSByteSize: 0 bytes/workgroup (compile time only)
; SGPRBlocks: 0
; VGPRBlocks: 1
; NumSGPRsForWavesPerEU: 56
; NumVGPRsForWavesPerEU: 22
; NamedBarCnt: 0
; Occupancy: 16
; WaveLimiterHint : 0
; COMPUTE_PGM_RSRC2:SCRATCH_EN: 0
; COMPUTE_PGM_RSRC2:USER_SGPR: 2
; COMPUTE_PGM_RSRC2:TRAP_HANDLER: 0
; COMPUTE_PGM_RSRC2:TGID_X_EN: 1
; COMPUTE_PGM_RSRC2:TGID_Y_EN: 0
; COMPUTE_PGM_RSRC2:TGID_Z_EN: 0
; COMPUTE_PGM_RSRC2:TIDIG_COMP_CNT: 0
	.section	.text._ZN2at6native12_GLOBAL__N_130avg_pool2d_out_cuda_frame_nhwcIffEEviPKT_llliiiiiiiiPS3_ibb,"axG",@progbits,_ZN2at6native12_GLOBAL__N_130avg_pool2d_out_cuda_frame_nhwcIffEEviPKT_llliiiiiiiiPS3_ibb,comdat
	.globl	_ZN2at6native12_GLOBAL__N_130avg_pool2d_out_cuda_frame_nhwcIffEEviPKT_llliiiiiiiiPS3_ibb ; -- Begin function _ZN2at6native12_GLOBAL__N_130avg_pool2d_out_cuda_frame_nhwcIffEEviPKT_llliiiiiiiiPS3_ibb
	.p2align	8
	.type	_ZN2at6native12_GLOBAL__N_130avg_pool2d_out_cuda_frame_nhwcIffEEviPKT_llliiiiiiiiPS3_ibb,@function
_ZN2at6native12_GLOBAL__N_130avg_pool2d_out_cuda_frame_nhwcIffEEviPKT_llliiiiiiiiPS3_ibb: ; @_ZN2at6native12_GLOBAL__N_130avg_pool2d_out_cuda_frame_nhwcIffEEviPKT_llliiiiiiiiPS3_ibb
; %bb.0:
	s_clause 0x1
	s_load_b32 s2, s[0:1], 0x0
	s_load_b32 s4, s[0:1], 0x64
	s_bfe_u32 s3, ttmp6, 0x4000c
	v_mov_b32_e32 v2, 0
	s_add_co_i32 s3, s3, 1
	s_and_b32 s5, ttmp6, 15
	s_mul_i32 s7, ttmp9, s3
	s_getreg_b32 s6, hwreg(HW_REG_IB_STS2, 6, 4)
	v_mov_b32_e32 v1, v2
	s_add_co_i32 s5, s5, s7
	s_mov_b32 s25, 0
	s_wait_kmcnt 0x0
	s_ashr_i32 s3, s2, 31
	s_and_b32 s24, s4, 0xffff
	s_cmp_eq_u32 s6, 0
	s_cselect_b32 s4, ttmp9, s5
	s_delay_alu instid0(SALU_CYCLE_1) | instskip(SKIP_1) | instid1(VALU_DEP_1)
	v_mad_nc_u64_u32 v[0:1], s24, s4, v[0:1]
	s_mov_b32 s4, exec_lo
	v_cmpx_gt_i64_e64 s[2:3], v[0:1]
	s_cbranch_execz .LBB2_21
; %bb.1:
	s_clause 0x3
	s_load_b256 s[4:11], s[0:1], 0x8
	s_load_b128 s[20:23], s[0:1], 0x48
	s_load_b32 s28, s[0:1], 0x54
	s_load_b256 s[12:19], s[0:1], 0x28
	s_add_nc_u64 s[26:27], s[0:1], 0x58
	s_mov_b32 s29, s25
	s_wait_xcnt 0x0
	s_load_b32 s1, s[26:27], 0x0
	s_mov_b64 s[36:37], 0xffffffff
	s_wait_kmcnt 0x0
	v_cvt_f32_u32_e32 v3, s6
	s_bitcmp1_b32 s23, 0
	s_mul_u64 s[30:31], s[10:11], s[8:9]
	s_cselect_b32 s0, -1, 0
	s_bitcmp1_b32 s28, 8
	v_rcp_iflag_f32_e32 v3, v3
	s_cselect_b32 s23, -1, 0
	s_sub_co_i32 s26, 0, s6
	s_ashr_i32 s27, s13, 31
	s_mul_u64 s[34:35], s[10:11], s[6:7]
	s_add_co_i32 s33, s18, s8
	s_add_co_i32 s48, s19, s10
	v_nop
	v_mul_f32_e32 v3, 0x4f7ffffe, v3
	s_mul_i32 s28, s1, s24
	s_lshl_b64 s[30:31], s[30:31], 2
	s_lshl_b64 s[34:35], s[34:35], 2
	;; [unrolled: 1-line block ×3, first 2 shown]
	v_cvt_u32_f32_e32 v3, v3
	s_ashr_i32 s40, s7, 31
	s_ashr_i32 s42, s27, 31
	s_mov_b32 s9, 0
	s_delay_alu instid0(VALU_DEP_1) | instskip(SKIP_2) | instid1(VALU_DEP_1)
	v_mul_lo_u32 v4, s26, v3
	s_mov_b32 s26, s13
	s_ashr_i32 s13, s12, 31
	v_mul_hi_u32 v4, v3, v4
	s_delay_alu instid0(VALU_DEP_1)
	v_add_nc_u32_e32 v10, v3, v4
	s_branch .LBB2_3
.LBB2_2:                                ;   in Loop: Header=BB2_3 Depth=1
	s_or_b32 exec_lo, exec_lo, s1
	v_lshl_add_u64 v[4:5], v[0:1], 2, s[20:21]
	v_add_nc_u64_e32 v[0:1], s[28:29], v[0:1]
	global_store_b32 v[4:5], v7, off
	v_cmp_le_i64_e32 vcc_lo, s[2:3], v[0:1]
	s_or_b32 s9, vcc_lo, s9
	s_wait_xcnt 0x0
	s_and_not1_b32 exec_lo, exec_lo, s9
	s_cbranch_execz .LBB2_21
.LBB2_3:                                ; =>This Loop Header: Depth=1
                                        ;     Child Loop BB2_17 Depth 2
                                        ;       Child Loop BB2_18 Depth 3
	v_or_b32_e32 v3, s7, v1
                                        ; implicit-def: $vgpr4_vgpr5
	s_mov_b32 s1, exec_lo
	s_delay_alu instid0(VALU_DEP_1)
	v_cmpx_ne_u64_e32 0, v[2:3]
	s_xor_b32 s43, exec_lo, s1
	s_cbranch_execz .LBB2_5
; %bb.4:                                ;   in Loop: Header=BB2_3 Depth=1
	s_mov_b32 s41, s40
	v_dual_mov_b32 v9, v2 :: v_dual_ashrrev_i32 v4, 31, v1
	s_add_nc_u64 s[44:45], s[6:7], s[40:41]
	v_mov_b32_e32 v19, v2
	s_xor_b64 s[44:45], s[44:45], s[40:41]
	s_delay_alu instid0(VALU_DEP_2) | instskip(SKIP_3) | instid1(VALU_DEP_1)
	v_mov_b32_e32 v5, v4
	s_cvt_f32_u32 s1, s44
	s_cvt_f32_u32 s24, s45
	s_sub_nc_u64 s[50:51], 0, s[44:45]
	v_add_nc_u64_e32 v[6:7], v[0:1], v[4:5]
	s_delay_alu instid0(SALU_CYCLE_1) | instskip(SKIP_1) | instid1(SALU_CYCLE_2)
	s_fmamk_f32 s1, s24, 0x4f800000, s1
	v_mov_b32_e32 v15, v2
	v_s_rcp_f32 s1, s1
	s_delay_alu instid0(VALU_DEP_2) | instskip(NEXT) | instid1(VALU_DEP_3)
	v_xor_b32_e32 v8, v6, v4
	v_xor_b32_e32 v14, v7, v4
	;; [unrolled: 1-line block ×3, first 2 shown]
	s_delay_alu instid0(TRANS32_DEP_1) | instskip(NEXT) | instid1(SALU_CYCLE_3)
	s_mul_f32 s1, s1, 0x5f7ffffc
	s_mul_f32 s24, s1, 0x2f800000
	s_delay_alu instid0(SALU_CYCLE_3) | instskip(NEXT) | instid1(SALU_CYCLE_3)
	s_trunc_f32 s24, s24
	s_fmamk_f32 s1, s24, 0xcf800000, s1
	s_cvt_u32_f32 s47, s24
	s_delay_alu instid0(SALU_CYCLE_2) | instskip(NEXT) | instid1(SALU_CYCLE_3)
	s_cvt_u32_f32 s46, s1
	s_mul_u64 s[52:53], s[50:51], s[46:47]
	s_delay_alu instid0(SALU_CYCLE_1)
	s_mul_hi_u32 s55, s46, s53
	s_mul_i32 s54, s46, s53
	s_mul_hi_u32 s24, s46, s52
	s_mul_i32 s41, s47, s52
	s_add_nc_u64 s[54:55], s[24:25], s[54:55]
	s_mul_hi_u32 s1, s47, s52
	s_mul_hi_u32 s49, s47, s53
	s_add_co_u32 s24, s54, s41
	s_add_co_ci_u32 s24, s55, s1
	s_mul_i32 s52, s47, s53
	s_add_co_ci_u32 s53, s49, 0
	s_delay_alu instid0(SALU_CYCLE_1) | instskip(NEXT) | instid1(SALU_CYCLE_1)
	s_add_nc_u64 s[52:53], s[24:25], s[52:53]
	s_add_co_u32 s46, s46, s52
	s_cselect_b32 s1, -1, 0
	s_delay_alu instid0(SALU_CYCLE_1) | instskip(SKIP_1) | instid1(SALU_CYCLE_1)
	s_cmp_lg_u32 s1, 0
	s_add_co_ci_u32 s47, s47, s53
	s_mul_u64 s[50:51], s[50:51], s[46:47]
	s_delay_alu instid0(SALU_CYCLE_1)
	s_mul_hi_u32 s53, s46, s51
	s_mul_i32 s52, s46, s51
	s_mul_hi_u32 s24, s46, s50
	s_mul_i32 s41, s47, s50
	s_add_nc_u64 s[52:53], s[24:25], s[52:53]
	s_mul_hi_u32 s1, s47, s50
	s_mul_hi_u32 s49, s47, s51
	s_add_co_u32 s24, s52, s41
	s_add_co_ci_u32 s24, s53, s1
	s_mul_i32 s50, s47, s51
	s_add_co_ci_u32 s51, s49, 0
	s_delay_alu instid0(SALU_CYCLE_1) | instskip(NEXT) | instid1(SALU_CYCLE_1)
	s_add_nc_u64 s[50:51], s[24:25], s[50:51]
	s_add_co_u32 s46, s46, s50
	s_cselect_b32 s1, -1, 0
	v_mul_hi_u32 v18, v8, s46
	s_cmp_lg_u32 s1, 0
	s_add_co_ci_u32 s24, s47, s51
	s_and_b64 s[50:51], s[46:47], s[36:37]
	v_mul_u64_e32 v[12:13], s[24:25], v[8:9]
	v_mul_u64_e32 v[6:7], s[50:51], v[14:15]
	;; [unrolled: 1-line block ×3, first 2 shown]
	s_delay_alu instid0(VALU_DEP_3) | instskip(NEXT) | instid1(VALU_DEP_1)
	v_add_nc_u64_e32 v[12:13], v[18:19], v[12:13]
	v_add_co_u32 v3, vcc_lo, v12, v6
	s_delay_alu instid0(VALU_DEP_2) | instskip(NEXT) | instid1(VALU_DEP_4)
	v_add_co_ci_u32_e32 v18, vcc_lo, v13, v7, vcc_lo
	v_add_co_ci_u32_e32 v17, vcc_lo, 0, v17, vcc_lo
	s_delay_alu instid0(VALU_DEP_1) | instskip(NEXT) | instid1(VALU_DEP_1)
	v_add_nc_u64_e32 v[6:7], v[18:19], v[16:17]
	v_mul_u64_e32 v[12:13], s[44:45], v[6:7]
	s_delay_alu instid0(VALU_DEP_1) | instskip(NEXT) | instid1(VALU_DEP_2)
	v_sub_nc_u32_e32 v3, v14, v13
	v_sub_co_u32 v5, vcc_lo, v8, v12
	s_delay_alu instid0(VALU_DEP_1) | instskip(NEXT) | instid1(VALU_DEP_3)
	v_sub_co_ci_u32_e64 v11, null, v14, v13, vcc_lo
	v_subrev_co_ci_u32_e64 v3, null, s45, v3, vcc_lo
	s_delay_alu instid0(VALU_DEP_3) | instskip(SKIP_1) | instid1(VALU_DEP_3)
	v_sub_co_u32 v8, s1, v5, s44
	v_add_nc_u64_e32 v[12:13], 1, v[6:7]
	v_subrev_co_ci_u32_e64 v3, null, 0, v3, s1
	s_delay_alu instid0(VALU_DEP_3) | instskip(SKIP_1) | instid1(VALU_DEP_3)
	v_cmp_le_u32_e32 vcc_lo, s44, v8
	v_cndmask_b32_e64 v8, 0, -1, vcc_lo
	v_cmp_le_u32_e32 vcc_lo, s45, v3
	v_cndmask_b32_e64 v9, 0, -1, vcc_lo
	;; [unrolled: 2-line block ×4, first 2 shown]
	v_cmp_eq_u32_e32 vcc_lo, s45, v3
	v_cndmask_b32_e32 v3, v9, v8, vcc_lo
	v_cmp_eq_u32_e32 vcc_lo, s45, v11
	v_add_nc_u64_e32 v[8:9], 2, v[6:7]
	v_cndmask_b32_e32 v5, v14, v5, vcc_lo
	s_delay_alu instid0(VALU_DEP_4) | instskip(NEXT) | instid1(VALU_DEP_2)
	v_cmp_ne_u32_e32 vcc_lo, 0, v3
	v_cmp_ne_u32_e64 s1, 0, v5
	s_delay_alu instid0(VALU_DEP_4) | instskip(NEXT) | instid1(VALU_DEP_1)
	v_dual_cndmask_b32 v3, v13, v9, vcc_lo :: v_dual_cndmask_b32 v5, v12, v8, vcc_lo
	v_dual_cndmask_b32 v6, v6, v5, s1 :: v_dual_mov_b32 v5, v4
	s_delay_alu instid0(VALU_DEP_1) | instskip(NEXT) | instid1(VALU_DEP_1)
	v_dual_cndmask_b32 v3, v7, v3, s1 :: v_dual_bitop2_b32 v6, v6, v4 bitop3:0x14
	v_xor_b32_e32 v7, v3, v4
	s_delay_alu instid0(VALU_DEP_1)
	v_sub_nc_u64_e32 v[4:5], v[6:7], v[4:5]
.LBB2_5:                                ;   in Loop: Header=BB2_3 Depth=1
	s_and_not1_saveexec_b32 s1, s43
	s_cbranch_execz .LBB2_7
; %bb.6:                                ;   in Loop: Header=BB2_3 Depth=1
	v_mul_hi_u32 v3, v0, v10
	s_delay_alu instid0(VALU_DEP_1) | instskip(NEXT) | instid1(VALU_DEP_1)
	v_mul_lo_u32 v4, v3, s6
	v_dual_add_nc_u32 v5, 1, v3 :: v_dual_sub_nc_u32 v4, v0, v4
	s_delay_alu instid0(VALU_DEP_1) | instskip(SKIP_1) | instid1(VALU_DEP_2)
	v_subrev_nc_u32_e32 v6, s6, v4
	v_cmp_le_u32_e32 vcc_lo, s6, v4
	v_dual_cndmask_b32 v4, v4, v6 :: v_dual_cndmask_b32 v3, v3, v5
	s_delay_alu instid0(VALU_DEP_1) | instskip(NEXT) | instid1(VALU_DEP_2)
	v_cmp_le_u32_e32 vcc_lo, s6, v4
	v_add_nc_u32_e32 v5, 1, v3
	s_delay_alu instid0(VALU_DEP_1)
	v_dual_cndmask_b32 v4, v3, v5 :: v_dual_mov_b32 v5, v2
.LBB2_7:                                ;   in Loop: Header=BB2_3 Depth=1
	s_or_b32 exec_lo, exec_lo, s1
	s_delay_alu instid0(VALU_DEP_1) | instskip(SKIP_1) | instid1(VALU_DEP_1)
	v_or_b32_e32 v3, s27, v5
                                        ; implicit-def: $vgpr6_vgpr7
	s_mov_b32 s1, exec_lo
	v_cmpx_ne_u64_e32 0, v[2:3]
	s_xor_b32 s41, exec_lo, s1
	s_cbranch_execz .LBB2_9
; %bb.8:                                ;   in Loop: Header=BB2_3 Depth=1
	s_mov_b32 s43, s42
	v_dual_mov_b32 v13, v2 :: v_dual_ashrrev_i32 v6, 31, v5
	s_add_nc_u64 s[44:45], s[26:27], s[42:43]
	s_delay_alu instid0(SALU_CYCLE_1) | instskip(NEXT) | instid1(VALU_DEP_1)
	s_xor_b64 s[44:45], s[44:45], s[42:43]
	v_mov_b32_e32 v7, v6
	s_cvt_f32_u32 s1, s44
	s_cvt_f32_u32 s24, s45
	s_sub_nc_u64 s[50:51], 0, s[44:45]
	s_delay_alu instid0(VALU_DEP_1) | instskip(NEXT) | instid1(SALU_CYCLE_1)
	v_add_nc_u64_e32 v[8:9], v[4:5], v[6:7]
	s_fmamk_f32 s1, s24, 0x4f800000, s1
	v_mov_b32_e32 v17, v2
	s_delay_alu instid0(SALU_CYCLE_2) | instskip(NEXT) | instid1(VALU_DEP_2)
	v_s_rcp_f32 s1, s1
	v_xor_b32_e32 v12, v8, v6
	s_delay_alu instid0(VALU_DEP_3) | instskip(NEXT) | instid1(TRANS32_DEP_1)
	v_dual_mov_b32 v21, v2 :: v_dual_bitop2_b32 v16, v9, v6 bitop3:0x14
	s_mul_f32 s1, s1, 0x5f7ffffc
	s_delay_alu instid0(SALU_CYCLE_3) | instskip(NEXT) | instid1(SALU_CYCLE_3)
	s_mul_f32 s24, s1, 0x2f800000
	s_trunc_f32 s24, s24
	s_delay_alu instid0(SALU_CYCLE_3) | instskip(SKIP_1) | instid1(SALU_CYCLE_2)
	s_fmamk_f32 s1, s24, 0xcf800000, s1
	s_cvt_u32_f32 s47, s24
	s_cvt_u32_f32 s46, s1
	s_delay_alu instid0(SALU_CYCLE_3) | instskip(NEXT) | instid1(SALU_CYCLE_1)
	s_mul_u64 s[52:53], s[50:51], s[46:47]
	s_mul_hi_u32 s55, s46, s53
	s_mul_i32 s54, s46, s53
	s_mul_hi_u32 s24, s46, s52
	s_mul_i32 s43, s47, s52
	s_add_nc_u64 s[54:55], s[24:25], s[54:55]
	s_mul_hi_u32 s1, s47, s52
	s_mul_hi_u32 s49, s47, s53
	s_add_co_u32 s24, s54, s43
	s_add_co_ci_u32 s24, s55, s1
	s_mul_i32 s52, s47, s53
	s_add_co_ci_u32 s53, s49, 0
	s_delay_alu instid0(SALU_CYCLE_1) | instskip(NEXT) | instid1(SALU_CYCLE_1)
	s_add_nc_u64 s[52:53], s[24:25], s[52:53]
	s_add_co_u32 s46, s46, s52
	s_cselect_b32 s1, -1, 0
	s_delay_alu instid0(SALU_CYCLE_1) | instskip(SKIP_1) | instid1(SALU_CYCLE_1)
	s_cmp_lg_u32 s1, 0
	s_add_co_ci_u32 s47, s47, s53
	s_mul_u64 s[50:51], s[50:51], s[46:47]
	s_delay_alu instid0(SALU_CYCLE_1)
	s_mul_hi_u32 s53, s46, s51
	s_mul_i32 s52, s46, s51
	s_mul_hi_u32 s24, s46, s50
	s_mul_i32 s43, s47, s50
	s_add_nc_u64 s[52:53], s[24:25], s[52:53]
	s_mul_hi_u32 s1, s47, s50
	s_mul_hi_u32 s49, s47, s51
	s_add_co_u32 s24, s52, s43
	s_add_co_ci_u32 s24, s53, s1
	s_mul_i32 s50, s47, s51
	s_add_co_ci_u32 s51, s49, 0
	s_delay_alu instid0(SALU_CYCLE_1) | instskip(NEXT) | instid1(SALU_CYCLE_1)
	s_add_nc_u64 s[50:51], s[24:25], s[50:51]
	s_add_co_u32 s46, s46, s50
	s_cselect_b32 s1, -1, 0
	v_mul_hi_u32 v20, v12, s46
	s_cmp_lg_u32 s1, 0
	s_add_co_ci_u32 s24, s47, s51
	s_and_b64 s[50:51], s[46:47], s[36:37]
	v_mul_u64_e32 v[14:15], s[24:25], v[12:13]
	v_mul_u64_e32 v[8:9], s[50:51], v[16:17]
	;; [unrolled: 1-line block ×3, first 2 shown]
	s_delay_alu instid0(VALU_DEP_3) | instskip(NEXT) | instid1(VALU_DEP_1)
	v_add_nc_u64_e32 v[14:15], v[20:21], v[14:15]
	v_add_co_u32 v3, vcc_lo, v14, v8
	s_delay_alu instid0(VALU_DEP_2) | instskip(NEXT) | instid1(VALU_DEP_4)
	v_add_co_ci_u32_e32 v20, vcc_lo, v15, v9, vcc_lo
	v_add_co_ci_u32_e32 v19, vcc_lo, 0, v19, vcc_lo
	s_delay_alu instid0(VALU_DEP_1) | instskip(NEXT) | instid1(VALU_DEP_1)
	v_add_nc_u64_e32 v[8:9], v[20:21], v[18:19]
	v_mul_u64_e32 v[14:15], s[44:45], v[8:9]
	s_delay_alu instid0(VALU_DEP_1) | instskip(NEXT) | instid1(VALU_DEP_2)
	v_sub_nc_u32_e32 v3, v16, v15
	v_sub_co_u32 v7, vcc_lo, v12, v14
	s_delay_alu instid0(VALU_DEP_1) | instskip(NEXT) | instid1(VALU_DEP_3)
	v_sub_co_ci_u32_e64 v16, null, v16, v15, vcc_lo
	v_subrev_co_ci_u32_e64 v3, null, s45, v3, vcc_lo
	s_delay_alu instid0(VALU_DEP_3) | instskip(SKIP_1) | instid1(VALU_DEP_3)
	v_sub_co_u32 v11, s1, v7, s44
	v_add_nc_u64_e32 v[14:15], 1, v[8:9]
	v_subrev_co_ci_u32_e64 v3, null, 0, v3, s1
	s_delay_alu instid0(VALU_DEP_3) | instskip(SKIP_1) | instid1(VALU_DEP_3)
	v_cmp_le_u32_e32 vcc_lo, s44, v11
	v_cndmask_b32_e64 v11, 0, -1, vcc_lo
	v_cmp_le_u32_e32 vcc_lo, s45, v3
	v_cndmask_b32_e64 v12, 0, -1, vcc_lo
	;; [unrolled: 2-line block ×4, first 2 shown]
	v_cmp_eq_u32_e32 vcc_lo, s45, v3
	v_cndmask_b32_e32 v3, v12, v11, vcc_lo
	v_cmp_eq_u32_e32 vcc_lo, s45, v16
	v_add_nc_u64_e32 v[12:13], 2, v[8:9]
	v_cndmask_b32_e32 v7, v17, v7, vcc_lo
	s_delay_alu instid0(VALU_DEP_4) | instskip(NEXT) | instid1(VALU_DEP_3)
	v_cmp_ne_u32_e32 vcc_lo, 0, v3
	v_cndmask_b32_e32 v3, v15, v13, vcc_lo
	s_delay_alu instid0(VALU_DEP_3) | instskip(SKIP_1) | instid1(VALU_DEP_2)
	v_cmp_ne_u32_e64 s1, 0, v7
	v_dual_cndmask_b32 v7, v14, v12, vcc_lo :: v_dual_bitop2_b32 v6, s42, v6 bitop3:0x14
	v_cndmask_b32_e64 v3, v9, v3, s1
	s_delay_alu instid0(VALU_DEP_2) | instskip(NEXT) | instid1(VALU_DEP_2)
	v_dual_cndmask_b32 v8, v8, v7, s1 :: v_dual_mov_b32 v7, v6
	v_xor_b32_e32 v9, v3, v6
	s_delay_alu instid0(VALU_DEP_2) | instskip(NEXT) | instid1(VALU_DEP_1)
	v_xor_b32_e32 v8, v8, v6
	v_sub_nc_u64_e32 v[6:7], v[8:9], v[6:7]
.LBB2_9:                                ;   in Loop: Header=BB2_3 Depth=1
	s_and_not1_saveexec_b32 s1, s41
	s_cbranch_execz .LBB2_11
; %bb.10:                               ;   in Loop: Header=BB2_3 Depth=1
	v_cvt_f32_u32_e32 v3, s26
	s_sub_co_i32 s24, 0, s26
	s_delay_alu instid0(VALU_DEP_1) | instskip(SKIP_1) | instid1(TRANS32_DEP_1)
	v_rcp_iflag_f32_e32 v3, v3
	v_nop
	v_mul_f32_e32 v3, 0x4f7ffffe, v3
	s_delay_alu instid0(VALU_DEP_1) | instskip(NEXT) | instid1(VALU_DEP_1)
	v_cvt_u32_f32_e32 v3, v3
	v_mul_lo_u32 v6, s24, v3
	s_delay_alu instid0(VALU_DEP_1) | instskip(NEXT) | instid1(VALU_DEP_1)
	v_mul_hi_u32 v6, v3, v6
	v_add_nc_u32_e32 v3, v3, v6
	s_delay_alu instid0(VALU_DEP_1) | instskip(NEXT) | instid1(VALU_DEP_1)
	v_mul_hi_u32 v3, v4, v3
	v_mul_lo_u32 v6, v3, s26
	s_delay_alu instid0(VALU_DEP_1) | instskip(NEXT) | instid1(VALU_DEP_1)
	v_dual_add_nc_u32 v7, 1, v3 :: v_dual_sub_nc_u32 v6, v4, v6
	v_subrev_nc_u32_e32 v8, s26, v6
	v_cmp_le_u32_e32 vcc_lo, s26, v6
	s_delay_alu instid0(VALU_DEP_2) | instskip(NEXT) | instid1(VALU_DEP_1)
	v_dual_cndmask_b32 v6, v6, v8 :: v_dual_cndmask_b32 v3, v3, v7
	v_cmp_le_u32_e32 vcc_lo, s26, v6
	s_delay_alu instid0(VALU_DEP_2) | instskip(NEXT) | instid1(VALU_DEP_1)
	v_add_nc_u32_e32 v7, 1, v3
	v_dual_cndmask_b32 v6, v3, v7 :: v_dual_mov_b32 v7, v2
.LBB2_11:                               ;   in Loop: Header=BB2_3 Depth=1
	s_or_b32 exec_lo, exec_lo, s1
	s_delay_alu instid0(VALU_DEP_1) | instskip(SKIP_1) | instid1(VALU_DEP_1)
	v_or_b32_e32 v3, s13, v7
                                        ; implicit-def: $vgpr8_vgpr9
	s_mov_b32 s1, exec_lo
	v_cmpx_ne_u64_e32 0, v[2:3]
	s_xor_b32 s41, exec_lo, s1
	s_cbranch_execz .LBB2_13
; %bb.12:                               ;   in Loop: Header=BB2_3 Depth=1
	s_ashr_i32 s44, s13, 31
	v_dual_mov_b32 v15, v2 :: v_dual_ashrrev_i32 v8, 31, v7
	s_mov_b32 s45, s44
	v_mov_b32_e32 v19, v2
	s_add_nc_u64 s[46:47], s[12:13], s[44:45]
	s_delay_alu instid0(VALU_DEP_2)
	v_mov_b32_e32 v9, v8
	s_xor_b64 s[46:47], s[46:47], s[44:45]
	v_mov_b32_e32 v23, v2
	s_cvt_f32_u32 s1, s46
	s_cvt_f32_u32 s24, s47
	s_sub_nc_u64 s[52:53], 0, s[46:47]
	v_add_nc_u64_e32 v[12:13], v[6:7], v[8:9]
	s_delay_alu instid0(SALU_CYCLE_1) | instskip(NEXT) | instid1(SALU_CYCLE_3)
	s_fmamk_f32 s1, s24, 0x4f800000, s1
	v_s_rcp_f32 s1, s1
	s_delay_alu instid0(VALU_DEP_1) | instskip(NEXT) | instid1(VALU_DEP_2)
	v_xor_b32_e32 v14, v12, v8
	v_xor_b32_e32 v18, v13, v8
	s_delay_alu instid0(TRANS32_DEP_1) | instskip(NEXT) | instid1(SALU_CYCLE_3)
	s_mul_f32 s1, s1, 0x5f7ffffc
	s_mul_f32 s24, s1, 0x2f800000
	s_delay_alu instid0(SALU_CYCLE_3) | instskip(NEXT) | instid1(SALU_CYCLE_3)
	s_trunc_f32 s24, s24
	s_fmamk_f32 s1, s24, 0xcf800000, s1
	s_cvt_u32_f32 s51, s24
	s_delay_alu instid0(SALU_CYCLE_2) | instskip(NEXT) | instid1(SALU_CYCLE_3)
	s_cvt_u32_f32 s50, s1
	s_mul_u64 s[54:55], s[52:53], s[50:51]
	s_delay_alu instid0(SALU_CYCLE_1)
	s_mul_hi_u32 s57, s50, s55
	s_mul_i32 s56, s50, s55
	s_mul_hi_u32 s24, s50, s54
	s_mul_i32 s43, s51, s54
	s_add_nc_u64 s[56:57], s[24:25], s[56:57]
	s_mul_hi_u32 s1, s51, s54
	s_mul_hi_u32 s45, s51, s55
	s_add_co_u32 s24, s56, s43
	s_add_co_ci_u32 s24, s57, s1
	s_mul_i32 s54, s51, s55
	s_add_co_ci_u32 s55, s45, 0
	s_delay_alu instid0(SALU_CYCLE_1) | instskip(NEXT) | instid1(SALU_CYCLE_1)
	s_add_nc_u64 s[54:55], s[24:25], s[54:55]
	s_add_co_u32 s50, s50, s54
	s_cselect_b32 s1, -1, 0
	s_delay_alu instid0(SALU_CYCLE_1) | instskip(SKIP_1) | instid1(SALU_CYCLE_1)
	s_cmp_lg_u32 s1, 0
	s_add_co_ci_u32 s51, s51, s55
	s_mul_u64 s[52:53], s[52:53], s[50:51]
	s_delay_alu instid0(SALU_CYCLE_1)
	s_mul_hi_u32 s55, s50, s53
	s_mul_i32 s54, s50, s53
	s_mul_hi_u32 s24, s50, s52
	s_mul_i32 s43, s51, s52
	s_add_nc_u64 s[54:55], s[24:25], s[54:55]
	s_mul_hi_u32 s1, s51, s52
	s_mul_hi_u32 s45, s51, s53
	s_add_co_u32 s24, s54, s43
	s_add_co_ci_u32 s24, s55, s1
	s_mul_i32 s52, s51, s53
	s_add_co_ci_u32 s53, s45, 0
	s_delay_alu instid0(SALU_CYCLE_1) | instskip(NEXT) | instid1(SALU_CYCLE_1)
	s_add_nc_u64 s[52:53], s[24:25], s[52:53]
	s_add_co_u32 s50, s50, s52
	s_cselect_b32 s1, -1, 0
	v_mul_hi_u32 v22, v14, s50
	s_cmp_lg_u32 s1, 0
	s_add_co_ci_u32 s24, s51, s53
	s_and_b64 s[52:53], s[50:51], s[36:37]
	v_mul_u64_e32 v[16:17], s[24:25], v[14:15]
	v_mul_u64_e32 v[12:13], s[52:53], v[18:19]
	;; [unrolled: 1-line block ×3, first 2 shown]
	s_delay_alu instid0(VALU_DEP_3) | instskip(NEXT) | instid1(VALU_DEP_1)
	v_add_nc_u64_e32 v[16:17], v[22:23], v[16:17]
	v_add_co_u32 v3, vcc_lo, v16, v12
	s_delay_alu instid0(VALU_DEP_2) | instskip(NEXT) | instid1(VALU_DEP_4)
	v_add_co_ci_u32_e32 v22, vcc_lo, v17, v13, vcc_lo
	v_add_co_ci_u32_e32 v21, vcc_lo, 0, v21, vcc_lo
	s_delay_alu instid0(VALU_DEP_1) | instskip(NEXT) | instid1(VALU_DEP_1)
	v_add_nc_u64_e32 v[12:13], v[22:23], v[20:21]
	v_mul_u64_e32 v[16:17], s[46:47], v[12:13]
	s_delay_alu instid0(VALU_DEP_1) | instskip(NEXT) | instid1(VALU_DEP_2)
	v_sub_nc_u32_e32 v3, v18, v17
	v_sub_co_u32 v7, vcc_lo, v14, v16
	s_delay_alu instid0(VALU_DEP_1) | instskip(NEXT) | instid1(VALU_DEP_3)
	v_sub_co_ci_u32_e64 v11, null, v18, v17, vcc_lo
	v_subrev_co_ci_u32_e64 v3, null, s47, v3, vcc_lo
	s_delay_alu instid0(VALU_DEP_3) | instskip(SKIP_1) | instid1(VALU_DEP_3)
	v_sub_co_u32 v9, s1, v7, s46
	v_add_nc_u64_e32 v[16:17], 1, v[12:13]
	v_subrev_co_ci_u32_e64 v3, null, 0, v3, s1
	s_delay_alu instid0(VALU_DEP_3) | instskip(SKIP_1) | instid1(VALU_DEP_3)
	v_cmp_le_u32_e32 vcc_lo, s46, v9
	v_cndmask_b32_e64 v9, 0, -1, vcc_lo
	v_cmp_le_u32_e32 vcc_lo, s47, v3
	v_cndmask_b32_e64 v14, 0, -1, vcc_lo
	;; [unrolled: 2-line block ×4, first 2 shown]
	v_cmp_eq_u32_e32 vcc_lo, s47, v3
	v_cndmask_b32_e32 v3, v14, v9, vcc_lo
	v_cmp_eq_u32_e32 vcc_lo, s47, v11
	v_add_nc_u64_e32 v[14:15], 2, v[12:13]
	v_cndmask_b32_e32 v7, v18, v7, vcc_lo
	s_delay_alu instid0(VALU_DEP_4) | instskip(NEXT) | instid1(VALU_DEP_2)
	v_cmp_ne_u32_e32 vcc_lo, 0, v3
	v_cmp_ne_u32_e64 s1, 0, v7
	s_delay_alu instid0(VALU_DEP_4) | instskip(NEXT) | instid1(VALU_DEP_1)
	v_dual_cndmask_b32 v3, v17, v15, vcc_lo :: v_dual_cndmask_b32 v7, v16, v14, vcc_lo
	v_dual_cndmask_b32 v3, v13, v3, s1 :: v_dual_bitop2_b32 v8, s44, v8 bitop3:0x14
	s_delay_alu instid0(VALU_DEP_1) | instskip(NEXT) | instid1(VALU_DEP_1)
	v_dual_cndmask_b32 v7, v12, v7, s1 :: v_dual_bitop2_b32 v13, v3, v8 bitop3:0x14
	v_dual_mov_b32 v9, v8 :: v_dual_bitop2_b32 v12, v7, v8 bitop3:0x14
	s_delay_alu instid0(VALU_DEP_1)
	v_sub_nc_u64_e32 v[8:9], v[12:13], v[8:9]
.LBB2_13:                               ;   in Loop: Header=BB2_3 Depth=1
	s_and_not1_saveexec_b32 s1, s41
	s_cbranch_execz .LBB2_15
; %bb.14:                               ;   in Loop: Header=BB2_3 Depth=1
	v_cvt_f32_u32_e32 v3, s12
	s_sub_co_i32 s24, 0, s12
	s_delay_alu instid0(VALU_DEP_1) | instskip(SKIP_1) | instid1(TRANS32_DEP_1)
	v_rcp_iflag_f32_e32 v3, v3
	v_nop
	v_mul_f32_e32 v3, 0x4f7ffffe, v3
	s_delay_alu instid0(VALU_DEP_1) | instskip(NEXT) | instid1(VALU_DEP_1)
	v_cvt_u32_f32_e32 v3, v3
	v_mul_lo_u32 v7, s24, v3
	s_delay_alu instid0(VALU_DEP_1) | instskip(NEXT) | instid1(VALU_DEP_1)
	v_mul_hi_u32 v7, v3, v7
	v_add_nc_u32_e32 v3, v3, v7
	s_delay_alu instid0(VALU_DEP_1) | instskip(NEXT) | instid1(VALU_DEP_1)
	v_mul_hi_u32 v3, v6, v3
	v_mul_lo_u32 v7, v3, s12
	s_delay_alu instid0(VALU_DEP_1) | instskip(NEXT) | instid1(VALU_DEP_1)
	v_sub_nc_u32_e32 v7, v6, v7
	v_subrev_nc_u32_e32 v9, s12, v7
	v_cmp_le_u32_e32 vcc_lo, s12, v7
	s_delay_alu instid0(VALU_DEP_2) | instskip(NEXT) | instid1(VALU_DEP_1)
	v_dual_cndmask_b32 v7, v7, v9 :: v_dual_add_nc_u32 v8, 1, v3
	v_dual_cndmask_b32 v3, v3, v8, vcc_lo :: v_dual_mov_b32 v9, v2
	s_delay_alu instid0(VALU_DEP_2) | instskip(NEXT) | instid1(VALU_DEP_2)
	v_cmp_le_u32_e32 vcc_lo, s12, v7
	v_add_nc_u32_e32 v8, 1, v3
	s_delay_alu instid0(VALU_DEP_1)
	v_cndmask_b32_e32 v8, v3, v8, vcc_lo
.LBB2_15:                               ;   in Loop: Header=BB2_3 Depth=1
	s_or_b32 exec_lo, exec_lo, s1
	s_delay_alu instid0(VALU_DEP_1) | instskip(SKIP_1) | instid1(VALU_DEP_2)
	v_mul_lo_u32 v3, v8, s12
	v_mul_lo_u32 v7, v6, s26
	v_sub_nc_u32_e32 v3, v6, v3
	s_delay_alu instid0(VALU_DEP_2) | instskip(NEXT) | instid1(VALU_DEP_2)
	v_dual_mov_b32 v7, 0 :: v_dual_sub_nc_u32 v6, v4, v7
	v_mul_lo_u32 v3, s16, v3
	s_delay_alu instid0(VALU_DEP_2) | instskip(NEXT) | instid1(VALU_DEP_2)
	v_mul_lo_u32 v6, s17, v6
	v_subrev_nc_u32_e32 v3, s18, v3
	s_delay_alu instid0(VALU_DEP_2) | instskip(NEXT) | instid1(VALU_DEP_2)
	v_subrev_nc_u32_e32 v11, s19, v6
	v_add_min_i32_e64 v13, v3, s14, s33
	s_delay_alu instid0(VALU_DEP_2) | instskip(SKIP_2) | instid1(VALU_DEP_4)
	v_add_min_i32_e64 v14, v11, s15, s48
	v_max_i32_e32 v12, 0, v3
	v_max_i32_e32 v6, 0, v11
	v_min_i32_e32 v15, s8, v13
	s_delay_alu instid0(VALU_DEP_4) | instskip(NEXT) | instid1(VALU_DEP_2)
	v_min_i32_e32 v16, s10, v14
	v_cmp_gt_i32_e32 vcc_lo, v15, v12
	s_delay_alu instid0(VALU_DEP_2) | instskip(SKIP_1) | instid1(SALU_CYCLE_1)
	v_cmp_gt_i32_e64 s1, v16, v6
	s_and_b32 s24, s1, vcc_lo
	s_and_saveexec_b32 s1, s24
	s_cbranch_execz .LBB2_2
; %bb.16:                               ;   in Loop: Header=BB2_3 Depth=1
	v_dual_mov_b32 v7, v2 :: v_dual_mov_b32 v17, v12
	v_lshlrev_b64_e32 v[4:5], 2, v[4:5]
	s_mov_b32 s24, 0
	s_delay_alu instid0(VALU_DEP_2) | instskip(NEXT) | instid1(VALU_DEP_1)
	v_mad_nc_u64_u32 v[18:19], s10, v12, v[6:7]
	v_mad_u32 v19, s11, v12, v19
	s_delay_alu instid0(VALU_DEP_1) | instskip(NEXT) | instid1(VALU_DEP_1)
	v_lshlrev_b64_e32 v[18:19], 2, v[18:19]
	v_mad_nc_u64_u32 v[18:19], s30, v8, v[18:19]
	s_delay_alu instid0(VALU_DEP_1) | instskip(NEXT) | instid1(VALU_DEP_1)
	v_mad_u32 v7, s31, v8, v19
	v_mad_u32 v19, s30, v9, v7
	v_lshlrev_b64_e32 v[8:9], 2, v[0:1]
	v_mov_b32_e32 v7, 0
	s_delay_alu instid0(VALU_DEP_3) | instskip(NEXT) | instid1(VALU_DEP_1)
	v_sub_nc_u64_e32 v[4:5], v[18:19], v[4:5]
	v_mad_nc_u64_u32 v[8:9], s6, v4, v[8:9]
	s_delay_alu instid0(VALU_DEP_1) | instskip(NEXT) | instid1(VALU_DEP_1)
	v_mad_u32 v4, s7, v4, v9
	v_mad_u32 v9, s6, v5, v4
	s_delay_alu instid0(VALU_DEP_1)
	v_add_nc_u64_e32 v[4:5], s[4:5], v[8:9]
.LBB2_17:                               ;   Parent Loop BB2_3 Depth=1
                                        ; =>  This Loop Header: Depth=2
                                        ;       Child Loop BB2_18 Depth 3
	s_delay_alu instid0(VALU_DEP_1)
	v_mov_b64_e32 v[8:9], v[4:5]
	v_mov_b32_e32 v18, v6
	s_mov_b32 s41, 0
.LBB2_18:                               ;   Parent Loop BB2_3 Depth=1
                                        ;     Parent Loop BB2_17 Depth=2
                                        ; =>    This Inner Loop Header: Depth=3
	global_load_b32 v19, v[8:9], off
	v_add_nc_u32_e32 v18, 1, v18
	s_wait_xcnt 0x0
	v_add_nc_u64_e32 v[8:9], s[38:39], v[8:9]
	s_wait_loadcnt 0x0
	v_add_f32_e32 v7, v7, v19
	v_cmp_ge_i32_e32 vcc_lo, v18, v16
	s_or_b32 s41, vcc_lo, s41
	s_delay_alu instid0(SALU_CYCLE_1)
	s_and_not1_b32 exec_lo, exec_lo, s41
	s_cbranch_execnz .LBB2_18
; %bb.19:                               ;   in Loop: Header=BB2_17 Depth=2
	s_or_b32 exec_lo, exec_lo, s41
	v_add_nc_u32_e32 v17, 1, v17
	v_add_nc_u64_e32 v[4:5], s[34:35], v[4:5]
	s_delay_alu instid0(VALU_DEP_2) | instskip(SKIP_1) | instid1(SALU_CYCLE_1)
	v_cmp_ge_i32_e32 vcc_lo, v17, v15
	s_or_b32 s24, vcc_lo, s24
	s_and_not1_b32 exec_lo, exec_lo, s24
	s_cbranch_execnz .LBB2_17
; %bb.20:                               ;   in Loop: Header=BB2_3 Depth=1
	s_or_b32 exec_lo, exec_lo, s24
	v_dual_sub_nc_u32 v3, v13, v3 :: v_dual_sub_nc_u32 v5, v15, v12
	v_dual_sub_nc_u32 v4, v14, v11 :: v_dual_sub_nc_u32 v6, v16, v6
	s_delay_alu instid0(VALU_DEP_1) | instskip(NEXT) | instid1(VALU_DEP_2)
	v_mul_lo_u32 v3, v3, v4
	v_mul_lo_u32 v4, v5, v6
	s_delay_alu instid0(VALU_DEP_1) | instskip(NEXT) | instid1(VALU_DEP_1)
	v_cndmask_b32_e64 v3, v4, v3, s0
	v_cndmask_b32_e64 v3, v3, s22, s23
	s_delay_alu instid0(VALU_DEP_1) | instskip(NEXT) | instid1(VALU_DEP_1)
	v_cvt_f32_i32_e32 v3, v3
	v_div_scale_f32 v4, null, v3, v3, v7
	s_delay_alu instid0(VALU_DEP_1) | instskip(SKIP_1) | instid1(TRANS32_DEP_1)
	v_rcp_f32_e32 v5, v4
	v_nop
	v_fma_f32 v6, -v4, v5, 1.0
	s_delay_alu instid0(VALU_DEP_1) | instskip(SKIP_1) | instid1(VALU_DEP_1)
	v_fmac_f32_e32 v5, v6, v5
	v_div_scale_f32 v6, vcc_lo, v7, v3, v7
	v_mul_f32_e32 v8, v6, v5
	s_delay_alu instid0(VALU_DEP_1) | instskip(NEXT) | instid1(VALU_DEP_1)
	v_fma_f32 v9, -v4, v8, v6
	v_fmac_f32_e32 v8, v9, v5
	s_delay_alu instid0(VALU_DEP_1) | instskip(NEXT) | instid1(VALU_DEP_1)
	v_fma_f32 v4, -v4, v8, v6
	v_div_fmas_f32 v4, v4, v5, v8
	s_delay_alu instid0(VALU_DEP_1)
	v_div_fixup_f32 v7, v4, v3, v7
	s_branch .LBB2_2
.LBB2_21:
	s_endpgm
	.section	.rodata,"a",@progbits
	.p2align	6, 0x0
	.amdhsa_kernel _ZN2at6native12_GLOBAL__N_130avg_pool2d_out_cuda_frame_nhwcIffEEviPKT_llliiiiiiiiPS3_ibb
		.amdhsa_group_segment_fixed_size 0
		.amdhsa_private_segment_fixed_size 0
		.amdhsa_kernarg_size 344
		.amdhsa_user_sgpr_count 2
		.amdhsa_user_sgpr_dispatch_ptr 0
		.amdhsa_user_sgpr_queue_ptr 0
		.amdhsa_user_sgpr_kernarg_segment_ptr 1
		.amdhsa_user_sgpr_dispatch_id 0
		.amdhsa_user_sgpr_kernarg_preload_length 0
		.amdhsa_user_sgpr_kernarg_preload_offset 0
		.amdhsa_user_sgpr_private_segment_size 0
		.amdhsa_wavefront_size32 1
		.amdhsa_uses_dynamic_stack 0
		.amdhsa_enable_private_segment 0
		.amdhsa_system_sgpr_workgroup_id_x 1
		.amdhsa_system_sgpr_workgroup_id_y 0
		.amdhsa_system_sgpr_workgroup_id_z 0
		.amdhsa_system_sgpr_workgroup_info 0
		.amdhsa_system_vgpr_workitem_id 0
		.amdhsa_next_free_vgpr 24
		.amdhsa_next_free_sgpr 58
		.amdhsa_named_barrier_count 0
		.amdhsa_reserve_vcc 1
		.amdhsa_float_round_mode_32 0
		.amdhsa_float_round_mode_16_64 0
		.amdhsa_float_denorm_mode_32 3
		.amdhsa_float_denorm_mode_16_64 3
		.amdhsa_fp16_overflow 0
		.amdhsa_memory_ordered 1
		.amdhsa_forward_progress 1
		.amdhsa_inst_pref_size 24
		.amdhsa_round_robin_scheduling 0
		.amdhsa_exception_fp_ieee_invalid_op 0
		.amdhsa_exception_fp_denorm_src 0
		.amdhsa_exception_fp_ieee_div_zero 0
		.amdhsa_exception_fp_ieee_overflow 0
		.amdhsa_exception_fp_ieee_underflow 0
		.amdhsa_exception_fp_ieee_inexact 0
		.amdhsa_exception_int_div_zero 0
	.end_amdhsa_kernel
	.section	.text._ZN2at6native12_GLOBAL__N_130avg_pool2d_out_cuda_frame_nhwcIffEEviPKT_llliiiiiiiiPS3_ibb,"axG",@progbits,_ZN2at6native12_GLOBAL__N_130avg_pool2d_out_cuda_frame_nhwcIffEEviPKT_llliiiiiiiiPS3_ibb,comdat
.Lfunc_end2:
	.size	_ZN2at6native12_GLOBAL__N_130avg_pool2d_out_cuda_frame_nhwcIffEEviPKT_llliiiiiiiiPS3_ibb, .Lfunc_end2-_ZN2at6native12_GLOBAL__N_130avg_pool2d_out_cuda_frame_nhwcIffEEviPKT_llliiiiiiiiPS3_ibb
                                        ; -- End function
	.set _ZN2at6native12_GLOBAL__N_130avg_pool2d_out_cuda_frame_nhwcIffEEviPKT_llliiiiiiiiPS3_ibb.num_vgpr, 24
	.set _ZN2at6native12_GLOBAL__N_130avg_pool2d_out_cuda_frame_nhwcIffEEviPKT_llliiiiiiiiPS3_ibb.num_agpr, 0
	.set _ZN2at6native12_GLOBAL__N_130avg_pool2d_out_cuda_frame_nhwcIffEEviPKT_llliiiiiiiiPS3_ibb.numbered_sgpr, 58
	.set _ZN2at6native12_GLOBAL__N_130avg_pool2d_out_cuda_frame_nhwcIffEEviPKT_llliiiiiiiiPS3_ibb.num_named_barrier, 0
	.set _ZN2at6native12_GLOBAL__N_130avg_pool2d_out_cuda_frame_nhwcIffEEviPKT_llliiiiiiiiPS3_ibb.private_seg_size, 0
	.set _ZN2at6native12_GLOBAL__N_130avg_pool2d_out_cuda_frame_nhwcIffEEviPKT_llliiiiiiiiPS3_ibb.uses_vcc, 1
	.set _ZN2at6native12_GLOBAL__N_130avg_pool2d_out_cuda_frame_nhwcIffEEviPKT_llliiiiiiiiPS3_ibb.uses_flat_scratch, 0
	.set _ZN2at6native12_GLOBAL__N_130avg_pool2d_out_cuda_frame_nhwcIffEEviPKT_llliiiiiiiiPS3_ibb.has_dyn_sized_stack, 0
	.set _ZN2at6native12_GLOBAL__N_130avg_pool2d_out_cuda_frame_nhwcIffEEviPKT_llliiiiiiiiPS3_ibb.has_recursion, 0
	.set _ZN2at6native12_GLOBAL__N_130avg_pool2d_out_cuda_frame_nhwcIffEEviPKT_llliiiiiiiiPS3_ibb.has_indirect_call, 0
	.section	.AMDGPU.csdata,"",@progbits
; Kernel info:
; codeLenInByte = 3060
; TotalNumSgprs: 60
; NumVgprs: 24
; ScratchSize: 0
; MemoryBound: 0
; FloatMode: 240
; IeeeMode: 1
; LDSByteSize: 0 bytes/workgroup (compile time only)
; SGPRBlocks: 0
; VGPRBlocks: 1
; NumSGPRsForWavesPerEU: 60
; NumVGPRsForWavesPerEU: 24
; NamedBarCnt: 0
; Occupancy: 16
; WaveLimiterHint : 0
; COMPUTE_PGM_RSRC2:SCRATCH_EN: 0
; COMPUTE_PGM_RSRC2:USER_SGPR: 2
; COMPUTE_PGM_RSRC2:TRAP_HANDLER: 0
; COMPUTE_PGM_RSRC2:TGID_X_EN: 1
; COMPUTE_PGM_RSRC2:TGID_Y_EN: 0
; COMPUTE_PGM_RSRC2:TGID_Z_EN: 0
; COMPUTE_PGM_RSRC2:TIDIG_COMP_CNT: 0
	.section	.text._ZN2at6native12_GLOBAL__N_125avg_pool2d_out_cuda_frameIffEEviPKT_lllliiiiiiiPS3_ibb,"axG",@progbits,_ZN2at6native12_GLOBAL__N_125avg_pool2d_out_cuda_frameIffEEviPKT_lllliiiiiiiPS3_ibb,comdat
	.globl	_ZN2at6native12_GLOBAL__N_125avg_pool2d_out_cuda_frameIffEEviPKT_lllliiiiiiiPS3_ibb ; -- Begin function _ZN2at6native12_GLOBAL__N_125avg_pool2d_out_cuda_frameIffEEviPKT_lllliiiiiiiPS3_ibb
	.p2align	8
	.type	_ZN2at6native12_GLOBAL__N_125avg_pool2d_out_cuda_frameIffEEviPKT_lllliiiiiiiPS3_ibb,@function
_ZN2at6native12_GLOBAL__N_125avg_pool2d_out_cuda_frameIffEEviPKT_lllliiiiiiiPS3_ibb: ; @_ZN2at6native12_GLOBAL__N_125avg_pool2d_out_cuda_frameIffEEviPKT_lllliiiiiiiPS3_ibb
; %bb.0:
	s_clause 0x1
	s_load_b32 s20, s[0:1], 0x0
	s_load_b32 s2, s[0:1], 0x6c
	s_bfe_u32 s3, ttmp6, 0x4000c
	s_and_b32 s4, ttmp6, 15
	s_add_co_i32 s3, s3, 1
	s_getreg_b32 s5, hwreg(HW_REG_IB_STS2, 6, 4)
	s_mul_i32 s3, ttmp9, s3
	v_mov_b32_e32 v1, 0
	s_add_co_i32 s4, s4, s3
	s_mov_b32 s23, 0
	s_wait_kmcnt 0x0
	s_ashr_i32 s21, s20, 31
	s_and_b32 s22, s2, 0xffff
	s_cmp_eq_u32 s5, 0
	s_cselect_b32 s2, ttmp9, s4
	s_delay_alu instid0(SALU_CYCLE_1) | instskip(SKIP_1) | instid1(VALU_DEP_1)
	v_mad_nc_u64_u32 v[2:3], s22, s2, v[0:1]
	s_mov_b32 s2, exec_lo
	v_cmpx_gt_i64_e64 s[20:21], v[2:3]
	s_cbranch_execz .LBB3_13
; %bb.1:
	s_clause 0x3
	s_load_b64 s[24:25], s[0:1], 0x28
	s_load_b128 s[4:7], s[0:1], 0x50
	s_load_b32 s3, s[0:1], 0x5c
	s_load_b128 s[8:11], s[0:1], 0x30
	s_add_nc_u64 s[26:27], s[0:1], 0x60
	s_load_b96 s[16:18], s[0:1], 0x40
	s_load_b32 s28, s[26:27], 0x0
	s_load_b128 s[12:15], s[0:1], 0x18
	s_mov_b32 s31, s23
	s_mov_b64 s[34:35], 0xffffffff
	s_wait_kmcnt 0x0
	v_cvt_f32_u32_e32 v0, s24
	s_bitcmp1_b32 s7, 0
	s_cselect_b32 s2, -1, 0
	s_bitcmp1_b32 s3, 8
	s_delay_alu instid0(VALU_DEP_1)
	v_rcp_iflag_f32_e32 v0, v0
	s_cselect_b32 s3, -1, 0
	s_abs_i32 s7, s8
	s_mul_i32 s28, s28, s22
	s_cvt_f32_u32 s19, s7
	s_ashr_i32 s33, s8, 31
	s_ashr_i32 s40, s25, 31
	v_nop
	v_mul_f32_e32 v0, 0x4f7ffffe, v0
	v_rcp_iflag_f32_e32 v4, s19
	s_sub_co_i32 s19, 0, s24
	s_delay_alu instid0(VALU_DEP_1) | instskip(NEXT) | instid1(TRANS32_DEP_1)
	v_cvt_u32_f32_e32 v0, v0
	v_readfirstlane_b32 s26, v4
	s_delay_alu instid0(VALU_DEP_2)
	v_mul_lo_u32 v4, s19, v0
	s_mul_f32 s29, s26, 0x4f7ffffe
	s_load_b64 s[26:27], s[0:1], 0x8
	s_wait_xcnt 0x0
	s_add_co_i32 s1, s17, s12
	s_add_co_i32 s19, s18, s14
	s_cvt_u32_f32 s0, s29
	s_sub_co_i32 s29, 0, s7
	s_lshl_b64 s[36:37], s[12:13], 2
	s_lshl_b64 s[38:39], s[14:15], 2
	s_delay_alu instid0(VALU_DEP_1)
	v_mul_hi_u32 v4, v0, v4
	s_mul_i32 s22, s29, s0
	s_mov_b32 s29, s23
	s_mul_hi_u32 s22, s0, s22
	s_mov_b32 s13, 0
	s_add_co_i32 s30, s0, s22
	s_delay_alu instid0(VALU_DEP_1)
	v_add_nc_u32_e32 v10, v0, v4
	s_branch .LBB3_3
.LBB3_2:                                ;   in Loop: Header=BB3_3 Depth=1
	s_or_b32 exec_lo, exec_lo, s0
	v_lshl_add_u64 v[6:7], v[2:3], 2, s[4:5]
	v_add_nc_u64_e32 v[2:3], s[28:29], v[2:3]
	global_store_b32 v[6:7], v5, off
	v_cmp_le_i64_e32 vcc_lo, s[20:21], v[2:3]
	s_or_b32 s13, vcc_lo, s13
	s_wait_xcnt 0x0
	s_and_not1_b32 exec_lo, exec_lo, s13
	s_cbranch_execz .LBB3_13
.LBB3_3:                                ; =>This Loop Header: Depth=1
                                        ;     Child Loop BB3_9 Depth 2
                                        ;       Child Loop BB3_10 Depth 3
	v_sub_nc_u32_e32 v0, 0, v2
	s_delay_alu instid0(VALU_DEP_1) | instskip(NEXT) | instid1(VALU_DEP_1)
	v_max_i32_e32 v0, v2, v0
	v_mul_u64_e32 v[4:5], s[30:31], v[0:1]
	s_delay_alu instid0(VALU_DEP_1) | instskip(NEXT) | instid1(VALU_DEP_1)
	v_mul_lo_u32 v4, v5, s7
	v_dual_sub_nc_u32 v0, v0, v4 :: v_dual_add_nc_u32 v4, 1, v5
	s_delay_alu instid0(VALU_DEP_1) | instskip(NEXT) | instid1(VALU_DEP_2)
	v_cmp_le_u32_e32 vcc_lo, s7, v0
	v_cndmask_b32_e32 v4, v5, v4, vcc_lo
	v_subrev_nc_u32_e32 v6, s7, v0
	v_ashrrev_i32_e32 v5, 31, v2
	s_delay_alu instid0(VALU_DEP_2) | instskip(NEXT) | instid1(VALU_DEP_1)
	v_dual_cndmask_b32 v0, v0, v6, vcc_lo :: v_dual_add_nc_u32 v6, 1, v4
	v_cmp_le_u32_e32 vcc_lo, s7, v0
	s_delay_alu instid0(VALU_DEP_2) | instskip(NEXT) | instid1(VALU_DEP_1)
	v_dual_cndmask_b32 v0, v4, v6, vcc_lo :: v_dual_bitop2_b32 v5, s33, v5 bitop3:0x14
	v_dual_mov_b32 v6, v1 :: v_dual_bitop2_b32 v0, v0, v5 bitop3:0x14
	s_delay_alu instid0(VALU_DEP_1) | instskip(NEXT) | instid1(VALU_DEP_1)
	v_sub_nc_u32_e32 v4, v0, v5
	v_ashrrev_i32_e32 v5, 31, v4
	s_delay_alu instid0(VALU_DEP_1) | instskip(NEXT) | instid1(VALU_DEP_1)
	v_or_b32_e32 v7, s25, v5
	v_cmp_ne_u64_e32 vcc_lo, 0, v[6:7]
                                        ; implicit-def: $vgpr6_vgpr7
	s_and_saveexec_b32 s0, vcc_lo
	s_delay_alu instid0(SALU_CYCLE_1)
	s_xor_b32 s44, exec_lo, s0
	s_cbranch_execz .LBB3_5
; %bb.4:                                ;   in Loop: Header=BB3_3 Depth=1
	s_mov_b32 s41, s40
	v_dual_mov_b32 v15, v1 :: v_dual_ashrrev_i32 v6, 31, v5
	s_add_nc_u64 s[42:43], s[24:25], s[40:41]
	s_delay_alu instid0(SALU_CYCLE_1) | instskip(NEXT) | instid1(VALU_DEP_1)
	s_xor_b64 s[42:43], s[42:43], s[40:41]
	v_mov_b32_e32 v7, v6
	s_cvt_f32_u32 s0, s42
	s_cvt_f32_u32 s22, s43
	s_sub_nc_u64 s[48:49], 0, s[42:43]
	s_delay_alu instid0(VALU_DEP_1) | instskip(NEXT) | instid1(SALU_CYCLE_1)
	v_add_nc_u64_e32 v[8:9], v[4:5], v[6:7]
	s_fmamk_f32 s0, s22, 0x4f800000, s0
	s_delay_alu instid0(SALU_CYCLE_3) | instskip(NEXT) | instid1(VALU_DEP_1)
	v_s_rcp_f32 s0, s0
	v_xor_b32_e32 v0, v8, v6
	s_delay_alu instid0(VALU_DEP_2) | instskip(SKIP_1) | instid1(TRANS32_DEP_1)
	v_xor_b32_e32 v14, v9, v6
	v_dual_mov_b32 v19, v1 :: v_dual_bitop2_b32 v6, s40, v6 bitop3:0x14
	s_mul_f32 s0, s0, 0x5f7ffffc
	s_delay_alu instid0(SALU_CYCLE_3) | instskip(NEXT) | instid1(SALU_CYCLE_3)
	s_mul_f32 s22, s0, 0x2f800000
	s_trunc_f32 s22, s22
	s_delay_alu instid0(SALU_CYCLE_3) | instskip(SKIP_1) | instid1(SALU_CYCLE_2)
	s_fmamk_f32 s0, s22, 0xcf800000, s0
	s_cvt_u32_f32 s47, s22
	s_cvt_u32_f32 s46, s0
	s_delay_alu instid0(SALU_CYCLE_3) | instskip(NEXT) | instid1(SALU_CYCLE_1)
	s_mul_u64 s[50:51], s[48:49], s[46:47]
	s_mul_hi_u32 s53, s46, s51
	s_mul_i32 s52, s46, s51
	s_mul_hi_u32 s22, s46, s50
	s_mul_i32 s41, s47, s50
	s_add_nc_u64 s[52:53], s[22:23], s[52:53]
	s_mul_hi_u32 s0, s47, s50
	s_mul_hi_u32 s45, s47, s51
	s_add_co_u32 s22, s52, s41
	s_add_co_ci_u32 s22, s53, s0
	s_mul_i32 s50, s47, s51
	s_add_co_ci_u32 s51, s45, 0
	s_delay_alu instid0(SALU_CYCLE_1) | instskip(NEXT) | instid1(SALU_CYCLE_1)
	s_add_nc_u64 s[50:51], s[22:23], s[50:51]
	s_add_co_u32 s46, s46, s50
	s_cselect_b32 s0, -1, 0
	s_delay_alu instid0(SALU_CYCLE_1) | instskip(SKIP_1) | instid1(SALU_CYCLE_1)
	s_cmp_lg_u32 s0, 0
	s_add_co_ci_u32 s47, s47, s51
	s_mul_u64 s[48:49], s[48:49], s[46:47]
	s_delay_alu instid0(SALU_CYCLE_1)
	s_mul_hi_u32 s51, s46, s49
	s_mul_i32 s50, s46, s49
	s_mul_hi_u32 s22, s46, s48
	s_mul_i32 s41, s47, s48
	s_add_nc_u64 s[50:51], s[22:23], s[50:51]
	s_mul_hi_u32 s0, s47, s48
	s_mul_hi_u32 s45, s47, s49
	s_add_co_u32 s22, s50, s41
	s_add_co_ci_u32 s22, s51, s0
	s_mul_i32 s48, s47, s49
	s_add_co_ci_u32 s49, s45, 0
	s_delay_alu instid0(SALU_CYCLE_1) | instskip(NEXT) | instid1(SALU_CYCLE_1)
	s_add_nc_u64 s[48:49], s[22:23], s[48:49]
	s_add_co_u32 s0, s46, s48
	s_cselect_b32 s22, -1, 0
	v_mul_hi_u32 v18, v0, s0
	s_cmp_lg_u32 s22, 0
	s_add_co_ci_u32 s22, s47, s49
	s_and_b64 s[46:47], s[0:1], s[34:35]
	v_mul_u64_e32 v[12:13], s[22:23], v[0:1]
	v_mul_u64_e32 v[8:9], s[46:47], v[14:15]
	;; [unrolled: 1-line block ×3, first 2 shown]
	s_delay_alu instid0(VALU_DEP_3) | instskip(NEXT) | instid1(VALU_DEP_1)
	v_add_nc_u64_e32 v[12:13], v[18:19], v[12:13]
	v_add_co_u32 v5, vcc_lo, v12, v8
	s_delay_alu instid0(VALU_DEP_2) | instskip(NEXT) | instid1(VALU_DEP_4)
	v_add_co_ci_u32_e32 v18, vcc_lo, v13, v9, vcc_lo
	v_add_co_ci_u32_e32 v17, vcc_lo, 0, v17, vcc_lo
	s_delay_alu instid0(VALU_DEP_1) | instskip(NEXT) | instid1(VALU_DEP_1)
	v_add_nc_u64_e32 v[8:9], v[18:19], v[16:17]
	v_mul_u64_e32 v[12:13], s[42:43], v[8:9]
	s_delay_alu instid0(VALU_DEP_1) | instskip(NEXT) | instid1(VALU_DEP_2)
	v_sub_nc_u32_e32 v5, v14, v13
	v_sub_co_u32 v0, vcc_lo, v0, v12
	s_delay_alu instid0(VALU_DEP_1) | instskip(NEXT) | instid1(VALU_DEP_3)
	v_sub_co_ci_u32_e64 v11, null, v14, v13, vcc_lo
	v_subrev_co_ci_u32_e64 v5, null, s43, v5, vcc_lo
	s_delay_alu instid0(VALU_DEP_3) | instskip(SKIP_1) | instid1(VALU_DEP_3)
	v_sub_co_u32 v7, s0, v0, s42
	v_add_nc_u64_e32 v[14:15], 1, v[8:9]
	v_subrev_co_ci_u32_e64 v5, null, 0, v5, s0
	s_delay_alu instid0(VALU_DEP_3) | instskip(SKIP_1) | instid1(VALU_DEP_3)
	v_cmp_le_u32_e32 vcc_lo, s42, v7
	v_cndmask_b32_e64 v7, 0, -1, vcc_lo
	v_cmp_le_u32_e32 vcc_lo, s43, v5
	v_cndmask_b32_e64 v12, 0, -1, vcc_lo
	;; [unrolled: 2-line block ×4, first 2 shown]
	v_cmp_eq_u32_e32 vcc_lo, s43, v5
	v_cndmask_b32_e32 v5, v12, v7, vcc_lo
	v_cmp_eq_u32_e32 vcc_lo, s43, v11
	v_add_nc_u64_e32 v[12:13], 2, v[8:9]
	v_cndmask_b32_e32 v0, v16, v0, vcc_lo
	s_delay_alu instid0(VALU_DEP_4) | instskip(NEXT) | instid1(VALU_DEP_3)
	v_cmp_ne_u32_e32 vcc_lo, 0, v5
	v_cndmask_b32_e32 v5, v15, v13, vcc_lo
	s_delay_alu instid0(VALU_DEP_3) | instskip(NEXT) | instid1(VALU_DEP_1)
	v_cmp_ne_u32_e64 s0, 0, v0
	v_dual_cndmask_b32 v0, v14, v12, vcc_lo :: v_dual_cndmask_b32 v5, v9, v5, s0
	s_delay_alu instid0(VALU_DEP_1) | instskip(NEXT) | instid1(VALU_DEP_2)
	v_dual_cndmask_b32 v0, v8, v0, s0 :: v_dual_mov_b32 v7, v6
	v_xor_b32_e32 v9, v5, v6
	s_delay_alu instid0(VALU_DEP_2) | instskip(NEXT) | instid1(VALU_DEP_1)
	v_xor_b32_e32 v8, v0, v6
	v_sub_nc_u64_e32 v[6:7], v[8:9], v[6:7]
.LBB3_5:                                ;   in Loop: Header=BB3_3 Depth=1
	s_and_not1_saveexec_b32 s0, s44
	s_cbranch_execz .LBB3_7
; %bb.6:                                ;   in Loop: Header=BB3_3 Depth=1
	v_mul_hi_u32 v0, v4, v10
	s_delay_alu instid0(VALU_DEP_1) | instskip(NEXT) | instid1(VALU_DEP_1)
	v_mul_lo_u32 v5, v0, s24
	v_dual_add_nc_u32 v6, 1, v0 :: v_dual_sub_nc_u32 v5, v4, v5
	s_delay_alu instid0(VALU_DEP_1) | instskip(SKIP_1) | instid1(VALU_DEP_2)
	v_subrev_nc_u32_e32 v7, s24, v5
	v_cmp_le_u32_e32 vcc_lo, s24, v5
	v_dual_cndmask_b32 v5, v5, v7 :: v_dual_cndmask_b32 v0, v0, v6
	s_delay_alu instid0(VALU_DEP_1) | instskip(NEXT) | instid1(VALU_DEP_2)
	v_cmp_le_u32_e32 vcc_lo, s24, v5
	v_add_nc_u32_e32 v6, 1, v0
	s_delay_alu instid0(VALU_DEP_1) | instskip(NEXT) | instid1(VALU_DEP_1)
	v_cndmask_b32_e32 v0, v0, v6, vcc_lo
	v_mov_b64_e32 v[6:7], v[0:1]
.LBB3_7:                                ;   in Loop: Header=BB3_3 Depth=1
	s_or_b32 exec_lo, exec_lo, s0
	s_delay_alu instid0(VALU_DEP_1) | instskip(SKIP_1) | instid1(VALU_DEP_1)
	v_mul_lo_u32 v0, v6, s24
	v_mul_lo_u32 v5, v4, s8
	v_dual_sub_nc_u32 v0, v4, v0 :: v_dual_sub_nc_u32 v4, v2, v5
	v_mov_b32_e32 v5, 0
	s_delay_alu instid0(VALU_DEP_2) | instskip(NEXT) | instid1(VALU_DEP_3)
	v_mul_lo_u32 v0, s11, v0
	v_mul_lo_u32 v4, v4, s16
	s_delay_alu instid0(VALU_DEP_2) | instskip(NEXT) | instid1(VALU_DEP_2)
	v_subrev_nc_u32_e32 v11, s17, v0
	v_subrev_nc_u32_e32 v12, s18, v4
	s_delay_alu instid0(VALU_DEP_2) | instskip(NEXT) | instid1(VALU_DEP_2)
	v_add_min_i32_e64 v13, v11, s9, s1
	v_add_min_i32_e64 v14, v12, s10, s19
	v_max_i32_e32 v0, 0, v11
	v_max_i32_e32 v4, 0, v12
	s_delay_alu instid0(VALU_DEP_4) | instskip(NEXT) | instid1(VALU_DEP_4)
	v_min_i32_e32 v15, s12, v13
	v_min_i32_e32 v16, s14, v14
	s_delay_alu instid0(VALU_DEP_2) | instskip(NEXT) | instid1(VALU_DEP_2)
	v_cmp_gt_i32_e32 vcc_lo, v15, v0
	v_cmp_gt_i32_e64 s0, v16, v4
	s_and_b32 s22, s0, vcc_lo
	s_delay_alu instid0(SALU_CYCLE_1)
	s_and_saveexec_b32 s0, s22
	s_cbranch_execz .LBB3_2
; %bb.8:                                ;   in Loop: Header=BB3_3 Depth=1
	v_lshlrev_b64_e32 v[8:9], 2, v[0:1]
	v_dual_mov_b32 v5, v1 :: v_dual_mov_b32 v17, v0
	s_mov_b32 s22, 0
	s_delay_alu instid0(VALU_DEP_1) | instskip(NEXT) | instid1(VALU_DEP_3)
	v_lshlrev_b64_e32 v[18:19], 2, v[4:5]
	v_mad_nc_u64_u32 v[8:9], s36, v6, v[8:9]
	s_delay_alu instid0(VALU_DEP_1) | instskip(NEXT) | instid1(VALU_DEP_2)
	v_mad_u32 v5, s37, v6, v9
	v_mad_nc_u64_u32 v[18:19], s14, v8, v[18:19]
	s_delay_alu instid0(VALU_DEP_2) | instskip(NEXT) | instid1(VALU_DEP_2)
	v_mad_u32 v5, s36, v7, v5
	v_mad_u32 v6, s15, v8, v19
	s_delay_alu instid0(VALU_DEP_1) | instskip(SKIP_2) | instid1(VALU_DEP_2)
	v_mad_u32 v19, s14, v5, v6
	v_mov_b32_e32 v5, 0
	s_wait_kmcnt 0x0
	v_add_nc_u64_e32 v[6:7], s[26:27], v[18:19]
.LBB3_9:                                ;   Parent Loop BB3_3 Depth=1
                                        ; =>  This Loop Header: Depth=2
                                        ;       Child Loop BB3_10 Depth 3
	s_delay_alu instid0(VALU_DEP_1)
	v_mov_b64_e32 v[8:9], v[6:7]
	v_mov_b32_e32 v18, v4
	s_mov_b32 s41, 0
.LBB3_10:                               ;   Parent Loop BB3_3 Depth=1
                                        ;     Parent Loop BB3_9 Depth=2
                                        ; =>    This Inner Loop Header: Depth=3
	global_load_b32 v19, v[8:9], off
	v_add_nc_u32_e32 v18, 1, v18
	s_wait_xcnt 0x0
	v_add_nc_u64_e32 v[8:9], 4, v[8:9]
	s_wait_loadcnt 0x0
	v_add_f32_e32 v5, v5, v19
	v_cmp_ge_i32_e32 vcc_lo, v18, v16
	s_or_b32 s41, vcc_lo, s41
	s_delay_alu instid0(SALU_CYCLE_1)
	s_and_not1_b32 exec_lo, exec_lo, s41
	s_cbranch_execnz .LBB3_10
; %bb.11:                               ;   in Loop: Header=BB3_9 Depth=2
	s_or_b32 exec_lo, exec_lo, s41
	v_add_nc_u32_e32 v17, 1, v17
	v_add_nc_u64_e32 v[6:7], s[38:39], v[6:7]
	s_delay_alu instid0(VALU_DEP_2) | instskip(SKIP_1) | instid1(SALU_CYCLE_1)
	v_cmp_ge_i32_e32 vcc_lo, v17, v15
	s_or_b32 s22, vcc_lo, s22
	s_and_not1_b32 exec_lo, exec_lo, s22
	s_cbranch_execnz .LBB3_9
; %bb.12:                               ;   in Loop: Header=BB3_3 Depth=1
	s_or_b32 exec_lo, exec_lo, s22
	v_dual_sub_nc_u32 v6, v13, v11 :: v_dual_sub_nc_u32 v7, v14, v12
	v_sub_nc_u32_e32 v0, v15, v0
	v_sub_nc_u32_e32 v4, v16, v4
	s_delay_alu instid0(VALU_DEP_3) | instskip(NEXT) | instid1(VALU_DEP_2)
	v_mul_lo_u32 v6, v6, v7
	v_mul_lo_u32 v0, v0, v4
	s_delay_alu instid0(VALU_DEP_1) | instskip(NEXT) | instid1(VALU_DEP_1)
	v_cndmask_b32_e64 v0, v0, v6, s2
	v_cndmask_b32_e64 v0, v0, s6, s3
	s_delay_alu instid0(VALU_DEP_1) | instskip(NEXT) | instid1(VALU_DEP_1)
	v_cvt_f32_i32_e32 v0, v0
	v_div_scale_f32 v4, null, v0, v0, v5
	s_delay_alu instid0(VALU_DEP_1) | instskip(SKIP_1) | instid1(TRANS32_DEP_1)
	v_rcp_f32_e32 v6, v4
	v_nop
	v_fma_f32 v7, -v4, v6, 1.0
	s_delay_alu instid0(VALU_DEP_1) | instskip(SKIP_1) | instid1(VALU_DEP_1)
	v_fmac_f32_e32 v6, v7, v6
	v_div_scale_f32 v7, vcc_lo, v5, v0, v5
	v_mul_f32_e32 v8, v7, v6
	s_delay_alu instid0(VALU_DEP_1) | instskip(NEXT) | instid1(VALU_DEP_1)
	v_fma_f32 v9, -v4, v8, v7
	v_fmac_f32_e32 v8, v9, v6
	s_delay_alu instid0(VALU_DEP_1) | instskip(NEXT) | instid1(VALU_DEP_1)
	v_fma_f32 v4, -v4, v8, v7
	v_div_fmas_f32 v4, v4, v6, v8
	s_delay_alu instid0(VALU_DEP_1)
	v_div_fixup_f32 v5, v4, v0, v5
	s_branch .LBB3_2
.LBB3_13:
	s_endpgm
	.section	.rodata,"a",@progbits
	.p2align	6, 0x0
	.amdhsa_kernel _ZN2at6native12_GLOBAL__N_125avg_pool2d_out_cuda_frameIffEEviPKT_lllliiiiiiiPS3_ibb
		.amdhsa_group_segment_fixed_size 0
		.amdhsa_private_segment_fixed_size 0
		.amdhsa_kernarg_size 352
		.amdhsa_user_sgpr_count 2
		.amdhsa_user_sgpr_dispatch_ptr 0
		.amdhsa_user_sgpr_queue_ptr 0
		.amdhsa_user_sgpr_kernarg_segment_ptr 1
		.amdhsa_user_sgpr_dispatch_id 0
		.amdhsa_user_sgpr_kernarg_preload_length 0
		.amdhsa_user_sgpr_kernarg_preload_offset 0
		.amdhsa_user_sgpr_private_segment_size 0
		.amdhsa_wavefront_size32 1
		.amdhsa_uses_dynamic_stack 0
		.amdhsa_enable_private_segment 0
		.amdhsa_system_sgpr_workgroup_id_x 1
		.amdhsa_system_sgpr_workgroup_id_y 0
		.amdhsa_system_sgpr_workgroup_id_z 0
		.amdhsa_system_sgpr_workgroup_info 0
		.amdhsa_system_vgpr_workitem_id 0
		.amdhsa_next_free_vgpr 20
		.amdhsa_next_free_sgpr 54
		.amdhsa_named_barrier_count 0
		.amdhsa_reserve_vcc 1
		.amdhsa_float_round_mode_32 0
		.amdhsa_float_round_mode_16_64 0
		.amdhsa_float_denorm_mode_32 3
		.amdhsa_float_denorm_mode_16_64 3
		.amdhsa_fp16_overflow 0
		.amdhsa_memory_ordered 1
		.amdhsa_forward_progress 1
		.amdhsa_inst_pref_size 14
		.amdhsa_round_robin_scheduling 0
		.amdhsa_exception_fp_ieee_invalid_op 0
		.amdhsa_exception_fp_denorm_src 0
		.amdhsa_exception_fp_ieee_div_zero 0
		.amdhsa_exception_fp_ieee_overflow 0
		.amdhsa_exception_fp_ieee_underflow 0
		.amdhsa_exception_fp_ieee_inexact 0
		.amdhsa_exception_int_div_zero 0
	.end_amdhsa_kernel
	.section	.text._ZN2at6native12_GLOBAL__N_125avg_pool2d_out_cuda_frameIffEEviPKT_lllliiiiiiiPS3_ibb,"axG",@progbits,_ZN2at6native12_GLOBAL__N_125avg_pool2d_out_cuda_frameIffEEviPKT_lllliiiiiiiPS3_ibb,comdat
.Lfunc_end3:
	.size	_ZN2at6native12_GLOBAL__N_125avg_pool2d_out_cuda_frameIffEEviPKT_lllliiiiiiiPS3_ibb, .Lfunc_end3-_ZN2at6native12_GLOBAL__N_125avg_pool2d_out_cuda_frameIffEEviPKT_lllliiiiiiiPS3_ibb
                                        ; -- End function
	.set _ZN2at6native12_GLOBAL__N_125avg_pool2d_out_cuda_frameIffEEviPKT_lllliiiiiiiPS3_ibb.num_vgpr, 20
	.set _ZN2at6native12_GLOBAL__N_125avg_pool2d_out_cuda_frameIffEEviPKT_lllliiiiiiiPS3_ibb.num_agpr, 0
	.set _ZN2at6native12_GLOBAL__N_125avg_pool2d_out_cuda_frameIffEEviPKT_lllliiiiiiiPS3_ibb.numbered_sgpr, 54
	.set _ZN2at6native12_GLOBAL__N_125avg_pool2d_out_cuda_frameIffEEviPKT_lllliiiiiiiPS3_ibb.num_named_barrier, 0
	.set _ZN2at6native12_GLOBAL__N_125avg_pool2d_out_cuda_frameIffEEviPKT_lllliiiiiiiPS3_ibb.private_seg_size, 0
	.set _ZN2at6native12_GLOBAL__N_125avg_pool2d_out_cuda_frameIffEEviPKT_lllliiiiiiiPS3_ibb.uses_vcc, 1
	.set _ZN2at6native12_GLOBAL__N_125avg_pool2d_out_cuda_frameIffEEviPKT_lllliiiiiiiPS3_ibb.uses_flat_scratch, 0
	.set _ZN2at6native12_GLOBAL__N_125avg_pool2d_out_cuda_frameIffEEviPKT_lllliiiiiiiPS3_ibb.has_dyn_sized_stack, 0
	.set _ZN2at6native12_GLOBAL__N_125avg_pool2d_out_cuda_frameIffEEviPKT_lllliiiiiiiPS3_ibb.has_recursion, 0
	.set _ZN2at6native12_GLOBAL__N_125avg_pool2d_out_cuda_frameIffEEviPKT_lllliiiiiiiPS3_ibb.has_indirect_call, 0
	.section	.AMDGPU.csdata,"",@progbits
; Kernel info:
; codeLenInByte = 1728
; TotalNumSgprs: 56
; NumVgprs: 20
; ScratchSize: 0
; MemoryBound: 0
; FloatMode: 240
; IeeeMode: 1
; LDSByteSize: 0 bytes/workgroup (compile time only)
; SGPRBlocks: 0
; VGPRBlocks: 1
; NumSGPRsForWavesPerEU: 56
; NumVGPRsForWavesPerEU: 20
; NamedBarCnt: 0
; Occupancy: 16
; WaveLimiterHint : 0
; COMPUTE_PGM_RSRC2:SCRATCH_EN: 0
; COMPUTE_PGM_RSRC2:USER_SGPR: 2
; COMPUTE_PGM_RSRC2:TRAP_HANDLER: 0
; COMPUTE_PGM_RSRC2:TGID_X_EN: 1
; COMPUTE_PGM_RSRC2:TGID_Y_EN: 0
; COMPUTE_PGM_RSRC2:TGID_Z_EN: 0
; COMPUTE_PGM_RSRC2:TIDIG_COMP_CNT: 0
	.section	.text._ZN2at6native12_GLOBAL__N_130avg_pool2d_out_cuda_frame_nhwcIN3c104HalfEfEEviPKT_llliiiiiiiiPS5_ibb,"axG",@progbits,_ZN2at6native12_GLOBAL__N_130avg_pool2d_out_cuda_frame_nhwcIN3c104HalfEfEEviPKT_llliiiiiiiiPS5_ibb,comdat
	.globl	_ZN2at6native12_GLOBAL__N_130avg_pool2d_out_cuda_frame_nhwcIN3c104HalfEfEEviPKT_llliiiiiiiiPS5_ibb ; -- Begin function _ZN2at6native12_GLOBAL__N_130avg_pool2d_out_cuda_frame_nhwcIN3c104HalfEfEEviPKT_llliiiiiiiiPS5_ibb
	.p2align	8
	.type	_ZN2at6native12_GLOBAL__N_130avg_pool2d_out_cuda_frame_nhwcIN3c104HalfEfEEviPKT_llliiiiiiiiPS5_ibb,@function
_ZN2at6native12_GLOBAL__N_130avg_pool2d_out_cuda_frame_nhwcIN3c104HalfEfEEviPKT_llliiiiiiiiPS5_ibb: ; @_ZN2at6native12_GLOBAL__N_130avg_pool2d_out_cuda_frame_nhwcIN3c104HalfEfEEviPKT_llliiiiiiiiPS5_ibb
; %bb.0:
	s_clause 0x1
	s_load_b32 s2, s[0:1], 0x0
	s_load_b32 s4, s[0:1], 0x64
	s_bfe_u32 s3, ttmp6, 0x4000c
	v_mov_b32_e32 v2, 0
	s_add_co_i32 s3, s3, 1
	s_and_b32 s5, ttmp6, 15
	s_mul_i32 s7, ttmp9, s3
	s_getreg_b32 s6, hwreg(HW_REG_IB_STS2, 6, 4)
	v_mov_b32_e32 v1, v2
	s_add_co_i32 s5, s5, s7
	s_mov_b32 s25, 0
	s_wait_kmcnt 0x0
	s_ashr_i32 s3, s2, 31
	s_and_b32 s24, s4, 0xffff
	s_cmp_eq_u32 s6, 0
	s_cselect_b32 s4, ttmp9, s5
	s_delay_alu instid0(SALU_CYCLE_1) | instskip(SKIP_1) | instid1(VALU_DEP_1)
	v_mad_nc_u64_u32 v[0:1], s24, s4, v[0:1]
	s_mov_b32 s4, exec_lo
	v_cmpx_gt_i64_e64 s[2:3], v[0:1]
	s_cbranch_execz .LBB4_23
; %bb.1:
	s_clause 0x3
	s_load_b256 s[4:11], s[0:1], 0x8
	s_load_b128 s[20:23], s[0:1], 0x48
	s_load_b32 s28, s[0:1], 0x54
	s_load_b256 s[12:19], s[0:1], 0x28
	s_add_nc_u64 s[26:27], s[0:1], 0x58
	s_mov_b32 s29, s25
	s_wait_xcnt 0x0
	s_load_b32 s1, s[26:27], 0x0
	s_mov_b64 s[36:37], 0xffffffff
	s_wait_kmcnt 0x0
	v_cvt_f32_u32_e32 v3, s6
	s_bitcmp1_b32 s23, 0
	s_mul_u64 s[30:31], s[10:11], s[8:9]
	s_cselect_b32 s0, -1, 0
	s_bitcmp1_b32 s28, 8
	v_rcp_iflag_f32_e32 v3, v3
	s_cselect_b32 s23, -1, 0
	s_sub_co_i32 s26, 0, s6
	s_ashr_i32 s27, s13, 31
	s_mul_u64 s[34:35], s[10:11], s[6:7]
	s_add_co_i32 s33, s18, s8
	s_add_co_i32 s48, s19, s10
	v_nop
	v_mul_f32_e32 v3, 0x4f7ffffe, v3
	s_mul_i32 s28, s1, s24
	s_lshl_b64 s[30:31], s[30:31], 1
	s_lshl_b64 s[34:35], s[34:35], 1
	;; [unrolled: 1-line block ×3, first 2 shown]
	v_cvt_u32_f32_e32 v3, v3
	s_ashr_i32 s40, s7, 31
	s_ashr_i32 s42, s27, 31
	s_mov_b32 s9, 0
	s_delay_alu instid0(VALU_DEP_1) | instskip(SKIP_2) | instid1(VALU_DEP_1)
	v_mul_lo_u32 v4, s26, v3
	s_mov_b32 s26, s13
	s_ashr_i32 s13, s12, 31
	v_mul_hi_u32 v4, v3, v4
	s_delay_alu instid0(VALU_DEP_1)
	v_add_nc_u32_e32 v12, v3, v4
	s_branch .LBB4_3
.LBB4_2:                                ;   in Loop: Header=BB4_3 Depth=1
	s_wait_xcnt 0x0
	s_or_b32 exec_lo, exec_lo, s1
	v_add_nc_u64_e32 v[0:1], s[28:29], v[0:1]
	s_delay_alu instid0(VALU_DEP_1) | instskip(SKIP_1) | instid1(SALU_CYCLE_1)
	v_cmp_le_i64_e32 vcc_lo, s[2:3], v[0:1]
	s_or_b32 s9, vcc_lo, s9
	s_and_not1_b32 exec_lo, exec_lo, s9
	s_cbranch_execz .LBB4_23
.LBB4_3:                                ; =>This Loop Header: Depth=1
                                        ;     Child Loop BB4_19 Depth 2
                                        ;       Child Loop BB4_20 Depth 3
	v_or_b32_e32 v3, s7, v1
                                        ; implicit-def: $vgpr4_vgpr5
	s_mov_b32 s1, exec_lo
	s_delay_alu instid0(VALU_DEP_1)
	v_cmpx_ne_u64_e32 0, v[2:3]
	s_xor_b32 s43, exec_lo, s1
	s_cbranch_execz .LBB4_5
; %bb.4:                                ;   in Loop: Header=BB4_3 Depth=1
	s_mov_b32 s41, s40
	v_dual_mov_b32 v9, v2 :: v_dual_ashrrev_i32 v4, 31, v1
	s_add_nc_u64 s[44:45], s[6:7], s[40:41]
	v_mov_b32_e32 v19, v2
	s_xor_b64 s[44:45], s[44:45], s[40:41]
	s_delay_alu instid0(VALU_DEP_2) | instskip(SKIP_3) | instid1(VALU_DEP_1)
	v_mov_b32_e32 v5, v4
	s_cvt_f32_u32 s1, s44
	s_cvt_f32_u32 s24, s45
	s_sub_nc_u64 s[50:51], 0, s[44:45]
	v_add_nc_u64_e32 v[6:7], v[0:1], v[4:5]
	s_delay_alu instid0(SALU_CYCLE_1) | instskip(SKIP_1) | instid1(SALU_CYCLE_2)
	s_fmamk_f32 s1, s24, 0x4f800000, s1
	v_mov_b32_e32 v15, v2
	v_s_rcp_f32 s1, s1
	s_delay_alu instid0(VALU_DEP_2) | instskip(NEXT) | instid1(VALU_DEP_3)
	v_xor_b32_e32 v8, v6, v4
	v_xor_b32_e32 v14, v7, v4
	s_delay_alu instid0(TRANS32_DEP_1) | instskip(NEXT) | instid1(SALU_CYCLE_3)
	s_mul_f32 s1, s1, 0x5f7ffffc
	s_mul_f32 s24, s1, 0x2f800000
	s_delay_alu instid0(SALU_CYCLE_3) | instskip(NEXT) | instid1(SALU_CYCLE_3)
	s_trunc_f32 s24, s24
	s_fmamk_f32 s1, s24, 0xcf800000, s1
	s_cvt_u32_f32 s47, s24
	s_delay_alu instid0(SALU_CYCLE_2) | instskip(NEXT) | instid1(SALU_CYCLE_3)
	s_cvt_u32_f32 s46, s1
	s_mul_u64 s[52:53], s[50:51], s[46:47]
	s_delay_alu instid0(SALU_CYCLE_1)
	s_mul_hi_u32 s55, s46, s53
	s_mul_i32 s54, s46, s53
	s_mul_hi_u32 s24, s46, s52
	s_mul_i32 s41, s47, s52
	s_add_nc_u64 s[54:55], s[24:25], s[54:55]
	s_mul_hi_u32 s1, s47, s52
	s_mul_hi_u32 s49, s47, s53
	s_add_co_u32 s24, s54, s41
	s_add_co_ci_u32 s24, s55, s1
	s_mul_i32 s52, s47, s53
	s_add_co_ci_u32 s53, s49, 0
	s_delay_alu instid0(SALU_CYCLE_1) | instskip(NEXT) | instid1(SALU_CYCLE_1)
	s_add_nc_u64 s[52:53], s[24:25], s[52:53]
	s_add_co_u32 s46, s46, s52
	s_cselect_b32 s1, -1, 0
	s_delay_alu instid0(SALU_CYCLE_1) | instskip(SKIP_1) | instid1(SALU_CYCLE_1)
	s_cmp_lg_u32 s1, 0
	s_add_co_ci_u32 s47, s47, s53
	s_mul_u64 s[50:51], s[50:51], s[46:47]
	s_delay_alu instid0(SALU_CYCLE_1)
	s_mul_hi_u32 s53, s46, s51
	s_mul_i32 s52, s46, s51
	s_mul_hi_u32 s24, s46, s50
	s_mul_i32 s41, s47, s50
	s_add_nc_u64 s[52:53], s[24:25], s[52:53]
	s_mul_hi_u32 s1, s47, s50
	s_mul_hi_u32 s49, s47, s51
	s_add_co_u32 s24, s52, s41
	s_add_co_ci_u32 s24, s53, s1
	s_mul_i32 s50, s47, s51
	s_add_co_ci_u32 s51, s49, 0
	s_delay_alu instid0(SALU_CYCLE_1) | instskip(NEXT) | instid1(SALU_CYCLE_1)
	s_add_nc_u64 s[50:51], s[24:25], s[50:51]
	s_add_co_u32 s46, s46, s50
	s_cselect_b32 s1, -1, 0
	v_mul_hi_u32 v18, v8, s46
	s_cmp_lg_u32 s1, 0
	s_add_co_ci_u32 s24, s47, s51
	s_and_b64 s[50:51], s[46:47], s[36:37]
	v_mul_u64_e32 v[10:11], s[24:25], v[8:9]
	v_mul_u64_e32 v[6:7], s[50:51], v[14:15]
	;; [unrolled: 1-line block ×3, first 2 shown]
	s_delay_alu instid0(VALU_DEP_3) | instskip(NEXT) | instid1(VALU_DEP_1)
	v_add_nc_u64_e32 v[10:11], v[18:19], v[10:11]
	v_add_co_u32 v3, vcc_lo, v10, v6
	s_delay_alu instid0(VALU_DEP_2) | instskip(NEXT) | instid1(VALU_DEP_4)
	v_add_co_ci_u32_e32 v18, vcc_lo, v11, v7, vcc_lo
	v_add_co_ci_u32_e32 v17, vcc_lo, 0, v17, vcc_lo
	s_delay_alu instid0(VALU_DEP_1) | instskip(NEXT) | instid1(VALU_DEP_1)
	v_add_nc_u64_e32 v[6:7], v[18:19], v[16:17]
	v_mul_u64_e32 v[10:11], s[44:45], v[6:7]
	s_delay_alu instid0(VALU_DEP_1) | instskip(NEXT) | instid1(VALU_DEP_2)
	v_sub_nc_u32_e32 v3, v14, v11
	v_sub_co_u32 v5, vcc_lo, v8, v10
	s_delay_alu instid0(VALU_DEP_1) | instskip(NEXT) | instid1(VALU_DEP_3)
	v_sub_co_ci_u32_e64 v13, null, v14, v11, vcc_lo
	v_subrev_co_ci_u32_e64 v3, null, s45, v3, vcc_lo
	s_delay_alu instid0(VALU_DEP_3) | instskip(SKIP_1) | instid1(VALU_DEP_3)
	v_sub_co_u32 v8, s1, v5, s44
	v_add_nc_u64_e32 v[10:11], 1, v[6:7]
	v_subrev_co_ci_u32_e64 v3, null, 0, v3, s1
	s_delay_alu instid0(VALU_DEP_3) | instskip(SKIP_1) | instid1(VALU_DEP_3)
	v_cmp_le_u32_e32 vcc_lo, s44, v8
	v_cndmask_b32_e64 v8, 0, -1, vcc_lo
	v_cmp_le_u32_e32 vcc_lo, s45, v3
	v_cndmask_b32_e64 v9, 0, -1, vcc_lo
	;; [unrolled: 2-line block ×4, first 2 shown]
	v_cmp_eq_u32_e32 vcc_lo, s45, v3
	v_cndmask_b32_e32 v3, v9, v8, vcc_lo
	v_cmp_eq_u32_e32 vcc_lo, s45, v13
	v_add_nc_u64_e32 v[8:9], 2, v[6:7]
	v_cndmask_b32_e32 v5, v14, v5, vcc_lo
	s_delay_alu instid0(VALU_DEP_4) | instskip(NEXT) | instid1(VALU_DEP_2)
	v_cmp_ne_u32_e32 vcc_lo, 0, v3
	v_cmp_ne_u32_e64 s1, 0, v5
	s_delay_alu instid0(VALU_DEP_4) | instskip(NEXT) | instid1(VALU_DEP_1)
	v_dual_cndmask_b32 v3, v11, v9, vcc_lo :: v_dual_cndmask_b32 v5, v10, v8, vcc_lo
	v_dual_cndmask_b32 v3, v7, v3, s1 :: v_dual_bitop2_b32 v4, s40, v4 bitop3:0x14
	s_delay_alu instid0(VALU_DEP_1) | instskip(NEXT) | instid1(VALU_DEP_2)
	v_dual_cndmask_b32 v6, v6, v5, s1 :: v_dual_mov_b32 v5, v4
	v_xor_b32_e32 v7, v3, v4
	s_delay_alu instid0(VALU_DEP_2) | instskip(NEXT) | instid1(VALU_DEP_1)
	v_xor_b32_e32 v6, v6, v4
	v_sub_nc_u64_e32 v[4:5], v[6:7], v[4:5]
.LBB4_5:                                ;   in Loop: Header=BB4_3 Depth=1
	s_and_not1_saveexec_b32 s1, s43
	s_cbranch_execz .LBB4_7
; %bb.6:                                ;   in Loop: Header=BB4_3 Depth=1
	v_mul_hi_u32 v3, v0, v12
	s_delay_alu instid0(VALU_DEP_1) | instskip(NEXT) | instid1(VALU_DEP_1)
	v_mul_lo_u32 v4, v3, s6
	v_dual_add_nc_u32 v5, 1, v3 :: v_dual_sub_nc_u32 v4, v0, v4
	s_delay_alu instid0(VALU_DEP_1) | instskip(SKIP_1) | instid1(VALU_DEP_2)
	v_subrev_nc_u32_e32 v6, s6, v4
	v_cmp_le_u32_e32 vcc_lo, s6, v4
	v_dual_cndmask_b32 v4, v4, v6 :: v_dual_cndmask_b32 v3, v3, v5
	s_delay_alu instid0(VALU_DEP_1) | instskip(NEXT) | instid1(VALU_DEP_2)
	v_cmp_le_u32_e32 vcc_lo, s6, v4
	v_add_nc_u32_e32 v5, 1, v3
	s_delay_alu instid0(VALU_DEP_1)
	v_dual_cndmask_b32 v4, v3, v5 :: v_dual_mov_b32 v5, v2
.LBB4_7:                                ;   in Loop: Header=BB4_3 Depth=1
	s_or_b32 exec_lo, exec_lo, s1
	s_delay_alu instid0(VALU_DEP_1) | instskip(SKIP_1) | instid1(VALU_DEP_1)
	v_or_b32_e32 v3, s27, v5
                                        ; implicit-def: $vgpr6_vgpr7
	s_mov_b32 s1, exec_lo
	v_cmpx_ne_u64_e32 0, v[2:3]
	s_xor_b32 s41, exec_lo, s1
	s_cbranch_execz .LBB4_9
; %bb.8:                                ;   in Loop: Header=BB4_3 Depth=1
	s_mov_b32 s43, s42
	v_dual_mov_b32 v11, v2 :: v_dual_ashrrev_i32 v6, 31, v5
	s_add_nc_u64 s[44:45], s[26:27], s[42:43]
	s_delay_alu instid0(SALU_CYCLE_1) | instskip(NEXT) | instid1(VALU_DEP_1)
	s_xor_b64 s[44:45], s[44:45], s[42:43]
	v_mov_b32_e32 v7, v6
	s_cvt_f32_u32 s1, s44
	s_cvt_f32_u32 s24, s45
	s_sub_nc_u64 s[50:51], 0, s[44:45]
	s_delay_alu instid0(VALU_DEP_1) | instskip(NEXT) | instid1(SALU_CYCLE_1)
	v_add_nc_u64_e32 v[8:9], v[4:5], v[6:7]
	s_fmamk_f32 s1, s24, 0x4f800000, s1
	v_mov_b32_e32 v17, v2
	s_delay_alu instid0(SALU_CYCLE_2) | instskip(NEXT) | instid1(VALU_DEP_2)
	v_s_rcp_f32 s1, s1
	v_xor_b32_e32 v10, v8, v6
	s_delay_alu instid0(VALU_DEP_3) | instskip(NEXT) | instid1(TRANS32_DEP_1)
	v_dual_mov_b32 v21, v2 :: v_dual_bitop2_b32 v16, v9, v6 bitop3:0x14
	s_mul_f32 s1, s1, 0x5f7ffffc
	s_delay_alu instid0(SALU_CYCLE_3) | instskip(NEXT) | instid1(SALU_CYCLE_3)
	s_mul_f32 s24, s1, 0x2f800000
	s_trunc_f32 s24, s24
	s_delay_alu instid0(SALU_CYCLE_3) | instskip(SKIP_1) | instid1(SALU_CYCLE_2)
	s_fmamk_f32 s1, s24, 0xcf800000, s1
	s_cvt_u32_f32 s47, s24
	s_cvt_u32_f32 s46, s1
	s_delay_alu instid0(SALU_CYCLE_3) | instskip(NEXT) | instid1(SALU_CYCLE_1)
	s_mul_u64 s[52:53], s[50:51], s[46:47]
	s_mul_hi_u32 s55, s46, s53
	s_mul_i32 s54, s46, s53
	s_mul_hi_u32 s24, s46, s52
	s_mul_i32 s43, s47, s52
	s_add_nc_u64 s[54:55], s[24:25], s[54:55]
	s_mul_hi_u32 s1, s47, s52
	s_mul_hi_u32 s49, s47, s53
	s_add_co_u32 s24, s54, s43
	s_add_co_ci_u32 s24, s55, s1
	s_mul_i32 s52, s47, s53
	s_add_co_ci_u32 s53, s49, 0
	s_delay_alu instid0(SALU_CYCLE_1) | instskip(NEXT) | instid1(SALU_CYCLE_1)
	s_add_nc_u64 s[52:53], s[24:25], s[52:53]
	s_add_co_u32 s46, s46, s52
	s_cselect_b32 s1, -1, 0
	s_delay_alu instid0(SALU_CYCLE_1) | instskip(SKIP_1) | instid1(SALU_CYCLE_1)
	s_cmp_lg_u32 s1, 0
	s_add_co_ci_u32 s47, s47, s53
	s_mul_u64 s[50:51], s[50:51], s[46:47]
	s_delay_alu instid0(SALU_CYCLE_1)
	s_mul_hi_u32 s53, s46, s51
	s_mul_i32 s52, s46, s51
	s_mul_hi_u32 s24, s46, s50
	s_mul_i32 s43, s47, s50
	s_add_nc_u64 s[52:53], s[24:25], s[52:53]
	s_mul_hi_u32 s1, s47, s50
	s_mul_hi_u32 s49, s47, s51
	s_add_co_u32 s24, s52, s43
	s_add_co_ci_u32 s24, s53, s1
	s_mul_i32 s50, s47, s51
	s_add_co_ci_u32 s51, s49, 0
	s_delay_alu instid0(SALU_CYCLE_1) | instskip(NEXT) | instid1(SALU_CYCLE_1)
	s_add_nc_u64 s[50:51], s[24:25], s[50:51]
	s_add_co_u32 s46, s46, s50
	s_cselect_b32 s1, -1, 0
	v_mul_hi_u32 v20, v10, s46
	s_cmp_lg_u32 s1, 0
	s_add_co_ci_u32 s24, s47, s51
	s_and_b64 s[50:51], s[46:47], s[36:37]
	v_mul_u64_e32 v[14:15], s[24:25], v[10:11]
	v_mul_u64_e32 v[8:9], s[50:51], v[16:17]
	;; [unrolled: 1-line block ×3, first 2 shown]
	s_delay_alu instid0(VALU_DEP_3) | instskip(NEXT) | instid1(VALU_DEP_1)
	v_add_nc_u64_e32 v[14:15], v[20:21], v[14:15]
	v_add_co_u32 v3, vcc_lo, v14, v8
	s_delay_alu instid0(VALU_DEP_2) | instskip(NEXT) | instid1(VALU_DEP_4)
	v_add_co_ci_u32_e32 v20, vcc_lo, v15, v9, vcc_lo
	v_add_co_ci_u32_e32 v19, vcc_lo, 0, v19, vcc_lo
	s_delay_alu instid0(VALU_DEP_1) | instskip(NEXT) | instid1(VALU_DEP_1)
	v_add_nc_u64_e32 v[8:9], v[20:21], v[18:19]
	v_mul_u64_e32 v[14:15], s[44:45], v[8:9]
	s_delay_alu instid0(VALU_DEP_1) | instskip(NEXT) | instid1(VALU_DEP_2)
	v_sub_nc_u32_e32 v3, v16, v15
	v_sub_co_u32 v7, vcc_lo, v10, v14
	s_delay_alu instid0(VALU_DEP_1) | instskip(NEXT) | instid1(VALU_DEP_3)
	v_sub_co_ci_u32_e64 v13, null, v16, v15, vcc_lo
	v_subrev_co_ci_u32_e64 v3, null, s45, v3, vcc_lo
	s_delay_alu instid0(VALU_DEP_3) | instskip(SKIP_1) | instid1(VALU_DEP_3)
	v_sub_co_u32 v10, s1, v7, s44
	v_add_nc_u64_e32 v[14:15], 1, v[8:9]
	v_subrev_co_ci_u32_e64 v3, null, 0, v3, s1
	s_delay_alu instid0(VALU_DEP_3) | instskip(SKIP_1) | instid1(VALU_DEP_3)
	v_cmp_le_u32_e32 vcc_lo, s44, v10
	v_cndmask_b32_e64 v10, 0, -1, vcc_lo
	v_cmp_le_u32_e32 vcc_lo, s45, v3
	v_cndmask_b32_e64 v11, 0, -1, vcc_lo
	;; [unrolled: 2-line block ×4, first 2 shown]
	v_cmp_eq_u32_e32 vcc_lo, s45, v3
	v_cndmask_b32_e32 v3, v11, v10, vcc_lo
	v_cmp_eq_u32_e32 vcc_lo, s45, v13
	v_add_nc_u64_e32 v[10:11], 2, v[8:9]
	v_cndmask_b32_e32 v7, v16, v7, vcc_lo
	s_delay_alu instid0(VALU_DEP_4) | instskip(NEXT) | instid1(VALU_DEP_2)
	v_cmp_ne_u32_e32 vcc_lo, 0, v3
	v_cmp_ne_u32_e64 s1, 0, v7
	s_delay_alu instid0(VALU_DEP_4) | instskip(NEXT) | instid1(VALU_DEP_1)
	v_dual_cndmask_b32 v3, v15, v11, vcc_lo :: v_dual_cndmask_b32 v7, v14, v10, vcc_lo
	v_dual_cndmask_b32 v3, v9, v3, s1 :: v_dual_bitop2_b32 v6, s42, v6 bitop3:0x14
	s_delay_alu instid0(VALU_DEP_1) | instskip(NEXT) | instid1(VALU_DEP_2)
	v_dual_cndmask_b32 v8, v8, v7, s1 :: v_dual_mov_b32 v7, v6
	v_xor_b32_e32 v9, v3, v6
	s_delay_alu instid0(VALU_DEP_2) | instskip(NEXT) | instid1(VALU_DEP_1)
	v_xor_b32_e32 v8, v8, v6
	v_sub_nc_u64_e32 v[6:7], v[8:9], v[6:7]
.LBB4_9:                                ;   in Loop: Header=BB4_3 Depth=1
	s_and_not1_saveexec_b32 s1, s41
	s_cbranch_execz .LBB4_11
; %bb.10:                               ;   in Loop: Header=BB4_3 Depth=1
	v_cvt_f32_u32_e32 v3, s26
	s_sub_co_i32 s24, 0, s26
	s_delay_alu instid0(VALU_DEP_1) | instskip(SKIP_1) | instid1(TRANS32_DEP_1)
	v_rcp_iflag_f32_e32 v3, v3
	v_nop
	v_mul_f32_e32 v3, 0x4f7ffffe, v3
	s_delay_alu instid0(VALU_DEP_1) | instskip(NEXT) | instid1(VALU_DEP_1)
	v_cvt_u32_f32_e32 v3, v3
	v_mul_lo_u32 v6, s24, v3
	s_delay_alu instid0(VALU_DEP_1) | instskip(NEXT) | instid1(VALU_DEP_1)
	v_mul_hi_u32 v6, v3, v6
	v_add_nc_u32_e32 v3, v3, v6
	s_delay_alu instid0(VALU_DEP_1) | instskip(NEXT) | instid1(VALU_DEP_1)
	v_mul_hi_u32 v3, v4, v3
	v_mul_lo_u32 v6, v3, s26
	s_delay_alu instid0(VALU_DEP_1) | instskip(NEXT) | instid1(VALU_DEP_1)
	v_dual_add_nc_u32 v7, 1, v3 :: v_dual_sub_nc_u32 v6, v4, v6
	v_subrev_nc_u32_e32 v8, s26, v6
	v_cmp_le_u32_e32 vcc_lo, s26, v6
	s_delay_alu instid0(VALU_DEP_2) | instskip(NEXT) | instid1(VALU_DEP_1)
	v_dual_cndmask_b32 v6, v6, v8 :: v_dual_cndmask_b32 v3, v3, v7
	v_cmp_le_u32_e32 vcc_lo, s26, v6
	s_delay_alu instid0(VALU_DEP_2) | instskip(NEXT) | instid1(VALU_DEP_1)
	v_add_nc_u32_e32 v7, 1, v3
	v_dual_cndmask_b32 v6, v3, v7 :: v_dual_mov_b32 v7, v2
.LBB4_11:                               ;   in Loop: Header=BB4_3 Depth=1
	s_or_b32 exec_lo, exec_lo, s1
	s_delay_alu instid0(VALU_DEP_1) | instskip(SKIP_1) | instid1(VALU_DEP_1)
	v_or_b32_e32 v3, s13, v7
                                        ; implicit-def: $vgpr10_vgpr11
	s_mov_b32 s1, exec_lo
	v_cmpx_ne_u64_e32 0, v[2:3]
	s_xor_b32 s41, exec_lo, s1
	s_cbranch_execz .LBB4_13
; %bb.12:                               ;   in Loop: Header=BB4_3 Depth=1
	s_ashr_i32 s44, s13, 31
	v_dual_mov_b32 v15, v2 :: v_dual_ashrrev_i32 v8, 31, v7
	s_mov_b32 s45, s44
	v_mov_b32_e32 v23, v2
	s_add_nc_u64 s[46:47], s[12:13], s[44:45]
	s_delay_alu instid0(VALU_DEP_2) | instskip(SKIP_1) | instid1(SALU_CYCLE_1)
	v_mov_b32_e32 v9, v8
	s_xor_b64 s[46:47], s[46:47], s[44:45]
	s_cvt_f32_u32 s1, s46
	s_cvt_f32_u32 s24, s47
	s_sub_nc_u64 s[52:53], 0, s[46:47]
	v_add_nc_u64_e32 v[10:11], v[6:7], v[8:9]
	v_mov_b32_e32 v19, v2
	s_fmamk_f32 s1, s24, 0x4f800000, s1
	s_delay_alu instid0(SALU_CYCLE_3) | instskip(NEXT) | instid1(VALU_DEP_2)
	v_s_rcp_f32 s1, s1
	v_xor_b32_e32 v14, v10, v8
	s_delay_alu instid0(VALU_DEP_3) | instskip(NEXT) | instid1(TRANS32_DEP_1)
	v_xor_b32_e32 v18, v11, v8
	s_mul_f32 s1, s1, 0x5f7ffffc
	s_delay_alu instid0(SALU_CYCLE_3) | instskip(NEXT) | instid1(SALU_CYCLE_3)
	s_mul_f32 s24, s1, 0x2f800000
	s_trunc_f32 s24, s24
	s_delay_alu instid0(SALU_CYCLE_3) | instskip(SKIP_1) | instid1(SALU_CYCLE_2)
	s_fmamk_f32 s1, s24, 0xcf800000, s1
	s_cvt_u32_f32 s51, s24
	s_cvt_u32_f32 s50, s1
	s_delay_alu instid0(SALU_CYCLE_3) | instskip(NEXT) | instid1(SALU_CYCLE_1)
	s_mul_u64 s[54:55], s[52:53], s[50:51]
	s_mul_hi_u32 s57, s50, s55
	s_mul_i32 s56, s50, s55
	s_mul_hi_u32 s24, s50, s54
	s_mul_i32 s43, s51, s54
	s_add_nc_u64 s[56:57], s[24:25], s[56:57]
	s_mul_hi_u32 s1, s51, s54
	s_mul_hi_u32 s45, s51, s55
	s_add_co_u32 s24, s56, s43
	s_add_co_ci_u32 s24, s57, s1
	s_mul_i32 s54, s51, s55
	s_add_co_ci_u32 s55, s45, 0
	s_delay_alu instid0(SALU_CYCLE_1) | instskip(NEXT) | instid1(SALU_CYCLE_1)
	s_add_nc_u64 s[54:55], s[24:25], s[54:55]
	s_add_co_u32 s50, s50, s54
	s_cselect_b32 s1, -1, 0
	s_delay_alu instid0(SALU_CYCLE_1) | instskip(SKIP_1) | instid1(SALU_CYCLE_1)
	s_cmp_lg_u32 s1, 0
	s_add_co_ci_u32 s51, s51, s55
	s_mul_u64 s[52:53], s[52:53], s[50:51]
	s_delay_alu instid0(SALU_CYCLE_1)
	s_mul_hi_u32 s55, s50, s53
	s_mul_i32 s54, s50, s53
	s_mul_hi_u32 s24, s50, s52
	s_mul_i32 s43, s51, s52
	s_add_nc_u64 s[54:55], s[24:25], s[54:55]
	s_mul_hi_u32 s1, s51, s52
	s_mul_hi_u32 s45, s51, s53
	s_add_co_u32 s24, s54, s43
	s_add_co_ci_u32 s24, s55, s1
	s_mul_i32 s52, s51, s53
	s_add_co_ci_u32 s53, s45, 0
	s_delay_alu instid0(SALU_CYCLE_1) | instskip(NEXT) | instid1(SALU_CYCLE_1)
	s_add_nc_u64 s[52:53], s[24:25], s[52:53]
	s_add_co_u32 s50, s50, s52
	s_cselect_b32 s1, -1, 0
	v_mul_hi_u32 v22, v14, s50
	s_cmp_lg_u32 s1, 0
	s_add_co_ci_u32 s24, s51, s53
	s_and_b64 s[52:53], s[50:51], s[36:37]
	v_mul_u64_e32 v[16:17], s[24:25], v[14:15]
	v_mul_u64_e32 v[10:11], s[52:53], v[18:19]
	;; [unrolled: 1-line block ×3, first 2 shown]
	s_delay_alu instid0(VALU_DEP_3) | instskip(NEXT) | instid1(VALU_DEP_1)
	v_add_nc_u64_e32 v[16:17], v[22:23], v[16:17]
	v_add_co_u32 v3, vcc_lo, v16, v10
	s_delay_alu instid0(VALU_DEP_2) | instskip(NEXT) | instid1(VALU_DEP_4)
	v_add_co_ci_u32_e32 v22, vcc_lo, v17, v11, vcc_lo
	v_add_co_ci_u32_e32 v21, vcc_lo, 0, v21, vcc_lo
	s_delay_alu instid0(VALU_DEP_1) | instskip(NEXT) | instid1(VALU_DEP_1)
	v_add_nc_u64_e32 v[10:11], v[22:23], v[20:21]
	v_mul_u64_e32 v[16:17], s[46:47], v[10:11]
	s_delay_alu instid0(VALU_DEP_1) | instskip(NEXT) | instid1(VALU_DEP_2)
	v_sub_nc_u32_e32 v3, v18, v17
	v_sub_co_u32 v7, vcc_lo, v14, v16
	s_delay_alu instid0(VALU_DEP_1) | instskip(NEXT) | instid1(VALU_DEP_3)
	v_sub_co_ci_u32_e64 v13, null, v18, v17, vcc_lo
	v_subrev_co_ci_u32_e64 v3, null, s47, v3, vcc_lo
	s_delay_alu instid0(VALU_DEP_3) | instskip(SKIP_1) | instid1(VALU_DEP_3)
	v_sub_co_u32 v9, s1, v7, s46
	v_add_nc_u64_e32 v[16:17], 1, v[10:11]
	v_subrev_co_ci_u32_e64 v3, null, 0, v3, s1
	s_delay_alu instid0(VALU_DEP_3) | instskip(SKIP_1) | instid1(VALU_DEP_3)
	v_cmp_le_u32_e32 vcc_lo, s46, v9
	v_cndmask_b32_e64 v9, 0, -1, vcc_lo
	v_cmp_le_u32_e32 vcc_lo, s47, v3
	v_cndmask_b32_e64 v14, 0, -1, vcc_lo
	;; [unrolled: 2-line block ×4, first 2 shown]
	v_cmp_eq_u32_e32 vcc_lo, s47, v3
	v_cndmask_b32_e32 v3, v14, v9, vcc_lo
	v_cmp_eq_u32_e32 vcc_lo, s47, v13
	v_add_nc_u64_e32 v[14:15], 2, v[10:11]
	v_cndmask_b32_e32 v7, v18, v7, vcc_lo
	s_delay_alu instid0(VALU_DEP_4) | instskip(NEXT) | instid1(VALU_DEP_2)
	v_cmp_ne_u32_e32 vcc_lo, 0, v3
	v_cmp_ne_u32_e64 s1, 0, v7
	s_delay_alu instid0(VALU_DEP_4) | instskip(NEXT) | instid1(VALU_DEP_1)
	v_dual_cndmask_b32 v3, v17, v15, vcc_lo :: v_dual_cndmask_b32 v7, v16, v14, vcc_lo
	v_dual_cndmask_b32 v3, v11, v3, s1 :: v_dual_bitop2_b32 v8, s44, v8 bitop3:0x14
	s_delay_alu instid0(VALU_DEP_1) | instskip(NEXT) | instid1(VALU_DEP_2)
	v_dual_cndmask_b32 v7, v10, v7, s1 :: v_dual_mov_b32 v9, v8
	v_xor_b32_e32 v11, v3, v8
	s_delay_alu instid0(VALU_DEP_2) | instskip(NEXT) | instid1(VALU_DEP_1)
	v_xor_b32_e32 v10, v7, v8
	v_sub_nc_u64_e32 v[10:11], v[10:11], v[8:9]
.LBB4_13:                               ;   in Loop: Header=BB4_3 Depth=1
	s_and_not1_saveexec_b32 s1, s41
	s_cbranch_execz .LBB4_15
; %bb.14:                               ;   in Loop: Header=BB4_3 Depth=1
	v_cvt_f32_u32_e32 v3, s12
	s_sub_co_i32 s24, 0, s12
	v_mov_b32_e32 v11, v2
	s_delay_alu instid0(VALU_DEP_2) | instskip(SKIP_1) | instid1(TRANS32_DEP_1)
	v_rcp_iflag_f32_e32 v3, v3
	v_nop
	v_mul_f32_e32 v3, 0x4f7ffffe, v3
	s_delay_alu instid0(VALU_DEP_1) | instskip(NEXT) | instid1(VALU_DEP_1)
	v_cvt_u32_f32_e32 v3, v3
	v_mul_lo_u32 v7, s24, v3
	s_delay_alu instid0(VALU_DEP_1) | instskip(NEXT) | instid1(VALU_DEP_1)
	v_mul_hi_u32 v7, v3, v7
	v_add_nc_u32_e32 v3, v3, v7
	s_delay_alu instid0(VALU_DEP_1) | instskip(NEXT) | instid1(VALU_DEP_1)
	v_mul_hi_u32 v3, v6, v3
	v_mul_lo_u32 v7, v3, s12
	s_delay_alu instid0(VALU_DEP_1) | instskip(NEXT) | instid1(VALU_DEP_1)
	v_sub_nc_u32_e32 v7, v6, v7
	v_subrev_nc_u32_e32 v9, s12, v7
	v_cmp_le_u32_e32 vcc_lo, s12, v7
	s_delay_alu instid0(VALU_DEP_2) | instskip(NEXT) | instid1(VALU_DEP_1)
	v_dual_cndmask_b32 v7, v7, v9 :: v_dual_add_nc_u32 v8, 1, v3
	v_cndmask_b32_e32 v3, v3, v8, vcc_lo
	s_delay_alu instid0(VALU_DEP_2) | instskip(NEXT) | instid1(VALU_DEP_2)
	v_cmp_le_u32_e32 vcc_lo, s12, v7
	v_add_nc_u32_e32 v8, 1, v3
	s_delay_alu instid0(VALU_DEP_1)
	v_cndmask_b32_e32 v10, v3, v8, vcc_lo
.LBB4_15:                               ;   in Loop: Header=BB4_3 Depth=1
	s_or_b32 exec_lo, exec_lo, s1
	s_delay_alu instid0(VALU_DEP_1) | instskip(SKIP_1) | instid1(VALU_DEP_2)
	v_mul_lo_u32 v3, v10, s12
	v_mul_lo_u32 v7, v6, s26
	v_sub_nc_u32_e32 v3, v6, v3
	s_delay_alu instid0(VALU_DEP_2) | instskip(NEXT) | instid1(VALU_DEP_1)
	v_sub_nc_u32_e32 v6, v4, v7
	v_mul_lo_u32 v6, s17, v6
	s_delay_alu instid0(VALU_DEP_1) | instskip(SKIP_1) | instid1(VALU_DEP_2)
	v_subrev_nc_u32_e32 v13, s19, v6
	v_lshl_add_u64 v[6:7], v[0:1], 1, s[20:21]
	v_max_i32_e32 v8, 0, v13
	v_mul_lo_u32 v3, s16, v3
	v_add_min_i32_e64 v15, v13, s15, s48
	s_delay_alu instid0(VALU_DEP_1) | instskip(NEXT) | instid1(VALU_DEP_1)
	v_min_i32_e32 v18, s10, v15
	v_cmp_le_i32_e64 s1, v18, v8
	s_delay_alu instid0(VALU_DEP_4) | instskip(NEXT) | instid1(VALU_DEP_1)
	v_subrev_nc_u32_e32 v3, s18, v3
	v_add_min_i32_e64 v14, v3, s14, s33
	v_max_i32_e32 v16, 0, v3
	s_delay_alu instid0(VALU_DEP_2) | instskip(NEXT) | instid1(VALU_DEP_1)
	v_min_i32_e32 v17, s8, v14
	v_cmp_le_i32_e32 vcc_lo, v17, v16
	s_or_b32 s1, s1, vcc_lo
	s_delay_alu instid0(SALU_CYCLE_1) | instskip(NEXT) | instid1(SALU_CYCLE_1)
	s_and_saveexec_b32 s24, s1
	s_xor_b32 s1, exec_lo, s24
	s_cbranch_execz .LBB4_17
; %bb.16:                               ;   in Loop: Header=BB4_3 Depth=1
	global_store_b16 v[6:7], v2, off
                                        ; implicit-def: $vgpr4_vgpr5
                                        ; implicit-def: $vgpr10_vgpr11
                                        ; implicit-def: $vgpr3
                                        ; implicit-def: $vgpr13
                                        ; implicit-def: $vgpr14
                                        ; implicit-def: $vgpr15
                                        ; implicit-def: $vgpr16
                                        ; implicit-def: $vgpr8
                                        ; implicit-def: $vgpr17
                                        ; implicit-def: $vgpr18
                                        ; implicit-def: $vgpr6_vgpr7
.LBB4_17:                               ;   in Loop: Header=BB4_3 Depth=1
	s_wait_xcnt 0x0
	s_and_not1_saveexec_b32 s1, s1
	s_cbranch_execz .LBB4_2
; %bb.18:                               ;   in Loop: Header=BB4_3 Depth=1
	v_dual_mov_b32 v9, v2 :: v_dual_mov_b32 v19, v16
	v_lshlrev_b64_e32 v[4:5], 1, v[4:5]
	s_mov_b32 s24, 0
	s_delay_alu instid0(VALU_DEP_2) | instskip(NEXT) | instid1(VALU_DEP_1)
	v_mad_nc_u64_u32 v[20:21], s10, v16, v[8:9]
	v_mad_u32 v21, s11, v16, v21
	s_delay_alu instid0(VALU_DEP_1) | instskip(NEXT) | instid1(VALU_DEP_1)
	v_lshlrev_b64_e32 v[20:21], 1, v[20:21]
	v_mad_nc_u64_u32 v[20:21], s30, v10, v[20:21]
	s_delay_alu instid0(VALU_DEP_1) | instskip(NEXT) | instid1(VALU_DEP_1)
	v_mad_u32 v9, s31, v10, v21
	v_mad_u32 v21, s30, v11, v9
	v_lshlrev_b64_e32 v[10:11], 1, v[0:1]
	v_mov_b32_e32 v9, 0
	s_delay_alu instid0(VALU_DEP_3) | instskip(NEXT) | instid1(VALU_DEP_1)
	v_sub_nc_u64_e32 v[4:5], v[20:21], v[4:5]
	v_mad_nc_u64_u32 v[10:11], s6, v4, v[10:11]
	s_delay_alu instid0(VALU_DEP_1) | instskip(NEXT) | instid1(VALU_DEP_1)
	v_mad_u32 v4, s7, v4, v11
	v_mad_u32 v11, s6, v5, v4
	s_delay_alu instid0(VALU_DEP_1)
	v_add_nc_u64_e32 v[4:5], s[4:5], v[10:11]
.LBB4_19:                               ;   Parent Loop BB4_3 Depth=1
                                        ; =>  This Loop Header: Depth=2
                                        ;       Child Loop BB4_20 Depth 3
	s_delay_alu instid0(VALU_DEP_1)
	v_mov_b64_e32 v[10:11], v[4:5]
	v_mov_b32_e32 v20, v8
	s_mov_b32 s41, 0
.LBB4_20:                               ;   Parent Loop BB4_3 Depth=1
                                        ;     Parent Loop BB4_19 Depth=2
                                        ; =>    This Inner Loop Header: Depth=3
	global_load_u16 v21, v[10:11], off
	s_wait_xcnt 0x0
	v_add_nc_u64_e32 v[10:11], s[38:39], v[10:11]
	s_wait_loadcnt 0x0
	v_cvt_f32_f16_e32 v21, v21
	s_delay_alu instid0(VALU_DEP_1) | instskip(NEXT) | instid1(VALU_DEP_1)
	v_dual_add_f32 v9, v9, v21 :: v_dual_add_nc_u32 v20, 1, v20
	v_cmp_ge_i32_e32 vcc_lo, v20, v18
	s_or_b32 s41, vcc_lo, s41
	s_delay_alu instid0(SALU_CYCLE_1)
	s_and_not1_b32 exec_lo, exec_lo, s41
	s_cbranch_execnz .LBB4_20
; %bb.21:                               ;   in Loop: Header=BB4_19 Depth=2
	s_or_b32 exec_lo, exec_lo, s41
	v_add_nc_u32_e32 v19, 1, v19
	v_add_nc_u64_e32 v[4:5], s[34:35], v[4:5]
	s_delay_alu instid0(VALU_DEP_2) | instskip(SKIP_1) | instid1(SALU_CYCLE_1)
	v_cmp_ge_i32_e32 vcc_lo, v19, v17
	s_or_b32 s24, vcc_lo, s24
	s_and_not1_b32 exec_lo, exec_lo, s24
	s_cbranch_execnz .LBB4_19
; %bb.22:                               ;   in Loop: Header=BB4_3 Depth=1
	s_or_b32 exec_lo, exec_lo, s24
	v_dual_sub_nc_u32 v3, v14, v3 :: v_dual_sub_nc_u32 v4, v15, v13
	v_sub_nc_u32_e32 v8, v18, v8
	s_delay_alu instid0(VALU_DEP_2) | instskip(SKIP_1) | instid1(VALU_DEP_1)
	v_mul_lo_u32 v3, v3, v4
	v_sub_nc_u32_e32 v5, v17, v16
	v_mul_lo_u32 v4, v5, v8
	s_delay_alu instid0(VALU_DEP_1) | instskip(NEXT) | instid1(VALU_DEP_1)
	v_cndmask_b32_e64 v3, v4, v3, s0
	v_cndmask_b32_e64 v3, v3, s22, s23
	s_delay_alu instid0(VALU_DEP_1) | instskip(NEXT) | instid1(VALU_DEP_1)
	v_cvt_f32_i32_e32 v3, v3
	v_div_scale_f32 v4, null, v3, v3, v9
	s_delay_alu instid0(VALU_DEP_1) | instskip(SKIP_1) | instid1(TRANS32_DEP_1)
	v_rcp_f32_e32 v5, v4
	v_nop
	v_fma_f32 v8, -v4, v5, 1.0
	s_delay_alu instid0(VALU_DEP_1) | instskip(SKIP_1) | instid1(VALU_DEP_1)
	v_fmac_f32_e32 v5, v8, v5
	v_div_scale_f32 v8, vcc_lo, v9, v3, v9
	v_mul_f32_e32 v10, v8, v5
	s_delay_alu instid0(VALU_DEP_1) | instskip(NEXT) | instid1(VALU_DEP_1)
	v_fma_f32 v11, -v4, v10, v8
	v_fmac_f32_e32 v10, v11, v5
	s_delay_alu instid0(VALU_DEP_1) | instskip(NEXT) | instid1(VALU_DEP_1)
	v_fma_f32 v4, -v4, v10, v8
	v_div_fmas_f32 v4, v4, v5, v10
	s_delay_alu instid0(VALU_DEP_1) | instskip(NEXT) | instid1(VALU_DEP_1)
	v_div_fixup_f32 v3, v4, v3, v9
	v_cvt_f16_f32_e32 v3, v3
	global_store_b16 v[6:7], v3, off
	s_branch .LBB4_2
.LBB4_23:
	s_endpgm
	.section	.rodata,"a",@progbits
	.p2align	6, 0x0
	.amdhsa_kernel _ZN2at6native12_GLOBAL__N_130avg_pool2d_out_cuda_frame_nhwcIN3c104HalfEfEEviPKT_llliiiiiiiiPS5_ibb
		.amdhsa_group_segment_fixed_size 0
		.amdhsa_private_segment_fixed_size 0
		.amdhsa_kernarg_size 344
		.amdhsa_user_sgpr_count 2
		.amdhsa_user_sgpr_dispatch_ptr 0
		.amdhsa_user_sgpr_queue_ptr 0
		.amdhsa_user_sgpr_kernarg_segment_ptr 1
		.amdhsa_user_sgpr_dispatch_id 0
		.amdhsa_user_sgpr_kernarg_preload_length 0
		.amdhsa_user_sgpr_kernarg_preload_offset 0
		.amdhsa_user_sgpr_private_segment_size 0
		.amdhsa_wavefront_size32 1
		.amdhsa_uses_dynamic_stack 0
		.amdhsa_enable_private_segment 0
		.amdhsa_system_sgpr_workgroup_id_x 1
		.amdhsa_system_sgpr_workgroup_id_y 0
		.amdhsa_system_sgpr_workgroup_id_z 0
		.amdhsa_system_sgpr_workgroup_info 0
		.amdhsa_system_vgpr_workitem_id 0
		.amdhsa_next_free_vgpr 24
		.amdhsa_next_free_sgpr 58
		.amdhsa_named_barrier_count 0
		.amdhsa_reserve_vcc 1
		.amdhsa_float_round_mode_32 0
		.amdhsa_float_round_mode_16_64 0
		.amdhsa_float_denorm_mode_32 3
		.amdhsa_float_denorm_mode_16_64 3
		.amdhsa_fp16_overflow 0
		.amdhsa_memory_ordered 1
		.amdhsa_forward_progress 1
		.amdhsa_inst_pref_size 25
		.amdhsa_round_robin_scheduling 0
		.amdhsa_exception_fp_ieee_invalid_op 0
		.amdhsa_exception_fp_denorm_src 0
		.amdhsa_exception_fp_ieee_div_zero 0
		.amdhsa_exception_fp_ieee_overflow 0
		.amdhsa_exception_fp_ieee_underflow 0
		.amdhsa_exception_fp_ieee_inexact 0
		.amdhsa_exception_int_div_zero 0
	.end_amdhsa_kernel
	.section	.text._ZN2at6native12_GLOBAL__N_130avg_pool2d_out_cuda_frame_nhwcIN3c104HalfEfEEviPKT_llliiiiiiiiPS5_ibb,"axG",@progbits,_ZN2at6native12_GLOBAL__N_130avg_pool2d_out_cuda_frame_nhwcIN3c104HalfEfEEviPKT_llliiiiiiiiPS5_ibb,comdat
.Lfunc_end4:
	.size	_ZN2at6native12_GLOBAL__N_130avg_pool2d_out_cuda_frame_nhwcIN3c104HalfEfEEviPKT_llliiiiiiiiPS5_ibb, .Lfunc_end4-_ZN2at6native12_GLOBAL__N_130avg_pool2d_out_cuda_frame_nhwcIN3c104HalfEfEEviPKT_llliiiiiiiiPS5_ibb
                                        ; -- End function
	.set _ZN2at6native12_GLOBAL__N_130avg_pool2d_out_cuda_frame_nhwcIN3c104HalfEfEEviPKT_llliiiiiiiiPS5_ibb.num_vgpr, 24
	.set _ZN2at6native12_GLOBAL__N_130avg_pool2d_out_cuda_frame_nhwcIN3c104HalfEfEEviPKT_llliiiiiiiiPS5_ibb.num_agpr, 0
	.set _ZN2at6native12_GLOBAL__N_130avg_pool2d_out_cuda_frame_nhwcIN3c104HalfEfEEviPKT_llliiiiiiiiPS5_ibb.numbered_sgpr, 58
	.set _ZN2at6native12_GLOBAL__N_130avg_pool2d_out_cuda_frame_nhwcIN3c104HalfEfEEviPKT_llliiiiiiiiPS5_ibb.num_named_barrier, 0
	.set _ZN2at6native12_GLOBAL__N_130avg_pool2d_out_cuda_frame_nhwcIN3c104HalfEfEEviPKT_llliiiiiiiiPS5_ibb.private_seg_size, 0
	.set _ZN2at6native12_GLOBAL__N_130avg_pool2d_out_cuda_frame_nhwcIN3c104HalfEfEEviPKT_llliiiiiiiiPS5_ibb.uses_vcc, 1
	.set _ZN2at6native12_GLOBAL__N_130avg_pool2d_out_cuda_frame_nhwcIN3c104HalfEfEEviPKT_llliiiiiiiiPS5_ibb.uses_flat_scratch, 0
	.set _ZN2at6native12_GLOBAL__N_130avg_pool2d_out_cuda_frame_nhwcIN3c104HalfEfEEviPKT_llliiiiiiiiPS5_ibb.has_dyn_sized_stack, 0
	.set _ZN2at6native12_GLOBAL__N_130avg_pool2d_out_cuda_frame_nhwcIN3c104HalfEfEEviPKT_llliiiiiiiiPS5_ibb.has_recursion, 0
	.set _ZN2at6native12_GLOBAL__N_130avg_pool2d_out_cuda_frame_nhwcIN3c104HalfEfEEviPKT_llliiiiiiiiPS5_ibb.has_indirect_call, 0
	.section	.AMDGPU.csdata,"",@progbits
; Kernel info:
; codeLenInByte = 3084
; TotalNumSgprs: 60
; NumVgprs: 24
; ScratchSize: 0
; MemoryBound: 0
; FloatMode: 240
; IeeeMode: 1
; LDSByteSize: 0 bytes/workgroup (compile time only)
; SGPRBlocks: 0
; VGPRBlocks: 1
; NumSGPRsForWavesPerEU: 60
; NumVGPRsForWavesPerEU: 24
; NamedBarCnt: 0
; Occupancy: 16
; WaveLimiterHint : 0
; COMPUTE_PGM_RSRC2:SCRATCH_EN: 0
; COMPUTE_PGM_RSRC2:USER_SGPR: 2
; COMPUTE_PGM_RSRC2:TRAP_HANDLER: 0
; COMPUTE_PGM_RSRC2:TGID_X_EN: 1
; COMPUTE_PGM_RSRC2:TGID_Y_EN: 0
; COMPUTE_PGM_RSRC2:TGID_Z_EN: 0
; COMPUTE_PGM_RSRC2:TIDIG_COMP_CNT: 0
	.section	.text._ZN2at6native12_GLOBAL__N_125avg_pool2d_out_cuda_frameIN3c104HalfEfEEviPKT_lllliiiiiiiPS5_ibb,"axG",@progbits,_ZN2at6native12_GLOBAL__N_125avg_pool2d_out_cuda_frameIN3c104HalfEfEEviPKT_lllliiiiiiiPS5_ibb,comdat
	.globl	_ZN2at6native12_GLOBAL__N_125avg_pool2d_out_cuda_frameIN3c104HalfEfEEviPKT_lllliiiiiiiPS5_ibb ; -- Begin function _ZN2at6native12_GLOBAL__N_125avg_pool2d_out_cuda_frameIN3c104HalfEfEEviPKT_lllliiiiiiiPS5_ibb
	.p2align	8
	.type	_ZN2at6native12_GLOBAL__N_125avg_pool2d_out_cuda_frameIN3c104HalfEfEEviPKT_lllliiiiiiiPS5_ibb,@function
_ZN2at6native12_GLOBAL__N_125avg_pool2d_out_cuda_frameIN3c104HalfEfEEviPKT_lllliiiiiiiPS5_ibb: ; @_ZN2at6native12_GLOBAL__N_125avg_pool2d_out_cuda_frameIN3c104HalfEfEEviPKT_lllliiiiiiiPS5_ibb
; %bb.0:
	s_clause 0x1
	s_load_b32 s20, s[0:1], 0x0
	s_load_b32 s2, s[0:1], 0x6c
	s_bfe_u32 s3, ttmp6, 0x4000c
	s_and_b32 s4, ttmp6, 15
	s_add_co_i32 s3, s3, 1
	s_getreg_b32 s5, hwreg(HW_REG_IB_STS2, 6, 4)
	s_mul_i32 s3, ttmp9, s3
	v_mov_b32_e32 v1, 0
	s_add_co_i32 s4, s4, s3
	s_mov_b32 s23, 0
	s_wait_kmcnt 0x0
	s_ashr_i32 s21, s20, 31
	s_and_b32 s22, s2, 0xffff
	s_cmp_eq_u32 s5, 0
	s_cselect_b32 s2, ttmp9, s4
	s_delay_alu instid0(SALU_CYCLE_1) | instskip(SKIP_1) | instid1(VALU_DEP_1)
	v_mad_nc_u64_u32 v[2:3], s22, s2, v[0:1]
	s_mov_b32 s2, exec_lo
	v_cmpx_gt_i64_e64 s[20:21], v[2:3]
	s_cbranch_execz .LBB5_15
; %bb.1:
	s_clause 0x3
	s_load_b64 s[24:25], s[0:1], 0x28
	s_load_b128 s[4:7], s[0:1], 0x50
	s_load_b32 s3, s[0:1], 0x5c
	s_load_b128 s[8:11], s[0:1], 0x30
	s_add_nc_u64 s[26:27], s[0:1], 0x60
	s_load_b96 s[16:18], s[0:1], 0x40
	s_load_b32 s28, s[26:27], 0x0
	s_load_b128 s[12:15], s[0:1], 0x18
	s_mov_b32 s31, s23
	s_mov_b64 s[34:35], 0xffffffff
	s_wait_kmcnt 0x0
	v_cvt_f32_u32_e32 v0, s24
	s_bitcmp1_b32 s7, 0
	s_cselect_b32 s2, -1, 0
	s_bitcmp1_b32 s3, 8
	s_delay_alu instid0(VALU_DEP_1)
	v_rcp_iflag_f32_e32 v0, v0
	s_cselect_b32 s3, -1, 0
	s_abs_i32 s7, s8
	s_mul_i32 s28, s28, s22
	s_cvt_f32_u32 s19, s7
	s_ashr_i32 s33, s8, 31
	s_ashr_i32 s40, s25, 31
	v_nop
	v_mul_f32_e32 v0, 0x4f7ffffe, v0
	v_rcp_iflag_f32_e32 v4, s19
	s_sub_co_i32 s19, 0, s24
	s_delay_alu instid0(VALU_DEP_1) | instskip(NEXT) | instid1(TRANS32_DEP_1)
	v_cvt_u32_f32_e32 v0, v0
	v_readfirstlane_b32 s26, v4
	s_delay_alu instid0(VALU_DEP_2)
	v_mul_lo_u32 v4, s19, v0
	s_mul_f32 s29, s26, 0x4f7ffffe
	s_load_b64 s[26:27], s[0:1], 0x8
	s_wait_xcnt 0x0
	s_add_co_i32 s1, s17, s12
	s_add_co_i32 s19, s18, s14
	s_cvt_u32_f32 s0, s29
	s_sub_co_i32 s29, 0, s7
	s_lshl_b64 s[36:37], s[12:13], 1
	s_lshl_b64 s[38:39], s[14:15], 1
	s_delay_alu instid0(VALU_DEP_1)
	v_mul_hi_u32 v4, v0, v4
	s_mul_i32 s22, s29, s0
	s_mov_b32 s29, s23
	s_mul_hi_u32 s22, s0, s22
	s_mov_b32 s13, 0
	s_add_co_i32 s30, s0, s22
	s_delay_alu instid0(VALU_DEP_1)
	v_add_nc_u32_e32 v10, v0, v4
	s_branch .LBB5_3
.LBB5_2:                                ;   in Loop: Header=BB5_3 Depth=1
	s_wait_xcnt 0x0
	s_or_b32 exec_lo, exec_lo, s0
	v_add_nc_u64_e32 v[2:3], s[28:29], v[2:3]
	s_delay_alu instid0(VALU_DEP_1) | instskip(SKIP_1) | instid1(SALU_CYCLE_1)
	v_cmp_le_i64_e32 vcc_lo, s[20:21], v[2:3]
	s_or_b32 s13, vcc_lo, s13
	s_and_not1_b32 exec_lo, exec_lo, s13
	s_cbranch_execz .LBB5_15
.LBB5_3:                                ; =>This Loop Header: Depth=1
                                        ;     Child Loop BB5_11 Depth 2
                                        ;       Child Loop BB5_12 Depth 3
	v_sub_nc_u32_e32 v0, 0, v2
	s_delay_alu instid0(VALU_DEP_1) | instskip(NEXT) | instid1(VALU_DEP_1)
	v_max_i32_e32 v0, v2, v0
	v_mul_u64_e32 v[4:5], s[30:31], v[0:1]
	s_delay_alu instid0(VALU_DEP_1) | instskip(NEXT) | instid1(VALU_DEP_1)
	v_mul_lo_u32 v4, v5, s7
	v_dual_sub_nc_u32 v0, v0, v4 :: v_dual_add_nc_u32 v4, 1, v5
	s_delay_alu instid0(VALU_DEP_1) | instskip(NEXT) | instid1(VALU_DEP_2)
	v_cmp_le_u32_e32 vcc_lo, s7, v0
	v_cndmask_b32_e32 v4, v5, v4, vcc_lo
	v_subrev_nc_u32_e32 v6, s7, v0
	v_ashrrev_i32_e32 v5, 31, v2
	s_delay_alu instid0(VALU_DEP_2) | instskip(NEXT) | instid1(VALU_DEP_1)
	v_dual_cndmask_b32 v0, v0, v6, vcc_lo :: v_dual_add_nc_u32 v6, 1, v4
	v_cmp_le_u32_e32 vcc_lo, s7, v0
	s_delay_alu instid0(VALU_DEP_2) | instskip(NEXT) | instid1(VALU_DEP_1)
	v_dual_cndmask_b32 v0, v4, v6, vcc_lo :: v_dual_bitop2_b32 v5, s33, v5 bitop3:0x14
	v_dual_mov_b32 v6, v1 :: v_dual_bitop2_b32 v0, v0, v5 bitop3:0x14
	s_delay_alu instid0(VALU_DEP_1) | instskip(NEXT) | instid1(VALU_DEP_1)
	v_sub_nc_u32_e32 v4, v0, v5
	v_ashrrev_i32_e32 v5, 31, v4
	s_delay_alu instid0(VALU_DEP_1) | instskip(NEXT) | instid1(VALU_DEP_1)
	v_or_b32_e32 v7, s25, v5
	v_cmp_ne_u64_e32 vcc_lo, 0, v[6:7]
                                        ; implicit-def: $vgpr6_vgpr7
	s_and_saveexec_b32 s0, vcc_lo
	s_delay_alu instid0(SALU_CYCLE_1)
	s_xor_b32 s44, exec_lo, s0
	s_cbranch_execz .LBB5_5
; %bb.4:                                ;   in Loop: Header=BB5_3 Depth=1
	s_mov_b32 s41, s40
	v_dual_mov_b32 v15, v1 :: v_dual_ashrrev_i32 v6, 31, v5
	s_add_nc_u64 s[42:43], s[24:25], s[40:41]
	s_delay_alu instid0(SALU_CYCLE_1) | instskip(NEXT) | instid1(VALU_DEP_1)
	s_xor_b64 s[42:43], s[42:43], s[40:41]
	v_mov_b32_e32 v7, v6
	s_cvt_f32_u32 s0, s42
	s_cvt_f32_u32 s22, s43
	s_sub_nc_u64 s[48:49], 0, s[42:43]
	s_delay_alu instid0(VALU_DEP_1) | instskip(NEXT) | instid1(SALU_CYCLE_1)
	v_add_nc_u64_e32 v[8:9], v[4:5], v[6:7]
	s_fmamk_f32 s0, s22, 0x4f800000, s0
	s_delay_alu instid0(SALU_CYCLE_3) | instskip(NEXT) | instid1(VALU_DEP_1)
	v_s_rcp_f32 s0, s0
	v_xor_b32_e32 v0, v8, v6
	s_delay_alu instid0(VALU_DEP_2) | instskip(SKIP_1) | instid1(TRANS32_DEP_1)
	v_xor_b32_e32 v14, v9, v6
	v_dual_mov_b32 v19, v1 :: v_dual_bitop2_b32 v6, s40, v6 bitop3:0x14
	s_mul_f32 s0, s0, 0x5f7ffffc
	s_delay_alu instid0(SALU_CYCLE_3) | instskip(NEXT) | instid1(SALU_CYCLE_3)
	s_mul_f32 s22, s0, 0x2f800000
	s_trunc_f32 s22, s22
	s_delay_alu instid0(SALU_CYCLE_3) | instskip(SKIP_1) | instid1(SALU_CYCLE_2)
	s_fmamk_f32 s0, s22, 0xcf800000, s0
	s_cvt_u32_f32 s47, s22
	s_cvt_u32_f32 s46, s0
	s_delay_alu instid0(SALU_CYCLE_3) | instskip(NEXT) | instid1(SALU_CYCLE_1)
	s_mul_u64 s[50:51], s[48:49], s[46:47]
	s_mul_hi_u32 s53, s46, s51
	s_mul_i32 s52, s46, s51
	s_mul_hi_u32 s22, s46, s50
	s_mul_i32 s41, s47, s50
	s_add_nc_u64 s[52:53], s[22:23], s[52:53]
	s_mul_hi_u32 s0, s47, s50
	s_mul_hi_u32 s45, s47, s51
	s_add_co_u32 s22, s52, s41
	s_add_co_ci_u32 s22, s53, s0
	s_mul_i32 s50, s47, s51
	s_add_co_ci_u32 s51, s45, 0
	s_delay_alu instid0(SALU_CYCLE_1) | instskip(NEXT) | instid1(SALU_CYCLE_1)
	s_add_nc_u64 s[50:51], s[22:23], s[50:51]
	s_add_co_u32 s46, s46, s50
	s_cselect_b32 s0, -1, 0
	s_delay_alu instid0(SALU_CYCLE_1) | instskip(SKIP_1) | instid1(SALU_CYCLE_1)
	s_cmp_lg_u32 s0, 0
	s_add_co_ci_u32 s47, s47, s51
	s_mul_u64 s[48:49], s[48:49], s[46:47]
	s_delay_alu instid0(SALU_CYCLE_1)
	s_mul_hi_u32 s51, s46, s49
	s_mul_i32 s50, s46, s49
	s_mul_hi_u32 s22, s46, s48
	s_mul_i32 s41, s47, s48
	s_add_nc_u64 s[50:51], s[22:23], s[50:51]
	s_mul_hi_u32 s0, s47, s48
	s_mul_hi_u32 s45, s47, s49
	s_add_co_u32 s22, s50, s41
	s_add_co_ci_u32 s22, s51, s0
	s_mul_i32 s48, s47, s49
	s_add_co_ci_u32 s49, s45, 0
	s_delay_alu instid0(SALU_CYCLE_1) | instskip(NEXT) | instid1(SALU_CYCLE_1)
	s_add_nc_u64 s[48:49], s[22:23], s[48:49]
	s_add_co_u32 s0, s46, s48
	s_cselect_b32 s22, -1, 0
	v_mul_hi_u32 v18, v0, s0
	s_cmp_lg_u32 s22, 0
	s_add_co_ci_u32 s22, s47, s49
	s_and_b64 s[46:47], s[0:1], s[34:35]
	v_mul_u64_e32 v[12:13], s[22:23], v[0:1]
	v_mul_u64_e32 v[8:9], s[46:47], v[14:15]
	;; [unrolled: 1-line block ×3, first 2 shown]
	s_delay_alu instid0(VALU_DEP_3) | instskip(NEXT) | instid1(VALU_DEP_1)
	v_add_nc_u64_e32 v[12:13], v[18:19], v[12:13]
	v_add_co_u32 v5, vcc_lo, v12, v8
	s_delay_alu instid0(VALU_DEP_2) | instskip(NEXT) | instid1(VALU_DEP_4)
	v_add_co_ci_u32_e32 v18, vcc_lo, v13, v9, vcc_lo
	v_add_co_ci_u32_e32 v17, vcc_lo, 0, v17, vcc_lo
	s_delay_alu instid0(VALU_DEP_1) | instskip(NEXT) | instid1(VALU_DEP_1)
	v_add_nc_u64_e32 v[8:9], v[18:19], v[16:17]
	v_mul_u64_e32 v[12:13], s[42:43], v[8:9]
	s_delay_alu instid0(VALU_DEP_1) | instskip(NEXT) | instid1(VALU_DEP_2)
	v_sub_nc_u32_e32 v5, v14, v13
	v_sub_co_u32 v0, vcc_lo, v0, v12
	s_delay_alu instid0(VALU_DEP_1) | instskip(NEXT) | instid1(VALU_DEP_3)
	v_sub_co_ci_u32_e64 v11, null, v14, v13, vcc_lo
	v_subrev_co_ci_u32_e64 v5, null, s43, v5, vcc_lo
	s_delay_alu instid0(VALU_DEP_3) | instskip(SKIP_1) | instid1(VALU_DEP_3)
	v_sub_co_u32 v7, s0, v0, s42
	v_add_nc_u64_e32 v[14:15], 1, v[8:9]
	v_subrev_co_ci_u32_e64 v5, null, 0, v5, s0
	s_delay_alu instid0(VALU_DEP_3) | instskip(SKIP_1) | instid1(VALU_DEP_3)
	v_cmp_le_u32_e32 vcc_lo, s42, v7
	v_cndmask_b32_e64 v7, 0, -1, vcc_lo
	v_cmp_le_u32_e32 vcc_lo, s43, v5
	v_cndmask_b32_e64 v12, 0, -1, vcc_lo
	;; [unrolled: 2-line block ×4, first 2 shown]
	v_cmp_eq_u32_e32 vcc_lo, s43, v5
	v_cndmask_b32_e32 v5, v12, v7, vcc_lo
	v_cmp_eq_u32_e32 vcc_lo, s43, v11
	v_add_nc_u64_e32 v[12:13], 2, v[8:9]
	v_cndmask_b32_e32 v0, v16, v0, vcc_lo
	s_delay_alu instid0(VALU_DEP_4) | instskip(NEXT) | instid1(VALU_DEP_3)
	v_cmp_ne_u32_e32 vcc_lo, 0, v5
	v_cndmask_b32_e32 v5, v15, v13, vcc_lo
	s_delay_alu instid0(VALU_DEP_3) | instskip(NEXT) | instid1(VALU_DEP_1)
	v_cmp_ne_u32_e64 s0, 0, v0
	v_dual_cndmask_b32 v0, v14, v12, vcc_lo :: v_dual_cndmask_b32 v5, v9, v5, s0
	s_delay_alu instid0(VALU_DEP_1) | instskip(NEXT) | instid1(VALU_DEP_2)
	v_dual_cndmask_b32 v0, v8, v0, s0 :: v_dual_mov_b32 v7, v6
	v_xor_b32_e32 v9, v5, v6
	s_delay_alu instid0(VALU_DEP_2) | instskip(NEXT) | instid1(VALU_DEP_1)
	v_xor_b32_e32 v8, v0, v6
	v_sub_nc_u64_e32 v[6:7], v[8:9], v[6:7]
.LBB5_5:                                ;   in Loop: Header=BB5_3 Depth=1
	s_and_not1_saveexec_b32 s0, s44
	s_cbranch_execz .LBB5_7
; %bb.6:                                ;   in Loop: Header=BB5_3 Depth=1
	v_mul_hi_u32 v0, v4, v10
	s_delay_alu instid0(VALU_DEP_1) | instskip(NEXT) | instid1(VALU_DEP_1)
	v_mul_lo_u32 v5, v0, s24
	v_dual_add_nc_u32 v6, 1, v0 :: v_dual_sub_nc_u32 v5, v4, v5
	s_delay_alu instid0(VALU_DEP_1) | instskip(SKIP_1) | instid1(VALU_DEP_2)
	v_subrev_nc_u32_e32 v7, s24, v5
	v_cmp_le_u32_e32 vcc_lo, s24, v5
	v_dual_cndmask_b32 v5, v5, v7 :: v_dual_cndmask_b32 v0, v0, v6
	s_delay_alu instid0(VALU_DEP_1) | instskip(NEXT) | instid1(VALU_DEP_2)
	v_cmp_le_u32_e32 vcc_lo, s24, v5
	v_add_nc_u32_e32 v6, 1, v0
	s_delay_alu instid0(VALU_DEP_1) | instskip(NEXT) | instid1(VALU_DEP_1)
	v_cndmask_b32_e32 v0, v0, v6, vcc_lo
	v_mov_b64_e32 v[6:7], v[0:1]
.LBB5_7:                                ;   in Loop: Header=BB5_3 Depth=1
	s_or_b32 exec_lo, exec_lo, s0
	s_delay_alu instid0(VALU_DEP_1) | instskip(SKIP_1) | instid1(VALU_DEP_1)
	v_mul_lo_u32 v0, v6, s24
	v_mul_lo_u32 v5, v4, s8
	v_dual_sub_nc_u32 v0, v4, v0 :: v_dual_sub_nc_u32 v4, v2, v5
	s_delay_alu instid0(VALU_DEP_1) | instskip(NEXT) | instid1(VALU_DEP_2)
	v_mul_lo_u32 v0, s11, v0
	v_mul_lo_u32 v4, v4, s16
	s_delay_alu instid0(VALU_DEP_2) | instskip(NEXT) | instid1(VALU_DEP_2)
	v_subrev_nc_u32_e32 v11, s17, v0
	v_subrev_nc_u32_e32 v12, s18, v4
	v_lshl_add_u64 v[4:5], v[2:3], 1, s[4:5]
	s_delay_alu instid0(VALU_DEP_3) | instskip(NEXT) | instid1(VALU_DEP_3)
	v_add_min_i32_e64 v13, v11, s9, s1
	v_add_min_i32_e64 v14, v12, s10, s19
	v_max_i32_e32 v15, 0, v11
	v_max_i32_e32 v16, 0, v12
	s_delay_alu instid0(VALU_DEP_4) | instskip(NEXT) | instid1(VALU_DEP_4)
	v_min_i32_e32 v17, s12, v13
	v_min_i32_e32 v18, s14, v14
	s_delay_alu instid0(VALU_DEP_2) | instskip(NEXT) | instid1(VALU_DEP_2)
	v_cmp_le_i32_e32 vcc_lo, v17, v15
	v_cmp_le_i32_e64 s0, v18, v16
	s_or_b32 s0, s0, vcc_lo
	s_delay_alu instid0(SALU_CYCLE_1) | instskip(NEXT) | instid1(SALU_CYCLE_1)
	s_and_saveexec_b32 s22, s0
	s_xor_b32 s0, exec_lo, s22
	s_cbranch_execz .LBB5_9
; %bb.8:                                ;   in Loop: Header=BB5_3 Depth=1
	global_store_b16 v[4:5], v1, off
                                        ; implicit-def: $vgpr6_vgpr7
                                        ; implicit-def: $vgpr11
                                        ; implicit-def: $vgpr12
                                        ; implicit-def: $vgpr13
                                        ; implicit-def: $vgpr14
                                        ; implicit-def: $vgpr15
                                        ; implicit-def: $vgpr16
                                        ; implicit-def: $vgpr17
                                        ; implicit-def: $vgpr18
                                        ; implicit-def: $vgpr4_vgpr5
.LBB5_9:                                ;   in Loop: Header=BB5_3 Depth=1
	s_wait_xcnt 0x0
	s_and_not1_saveexec_b32 s0, s0
	s_cbranch_execz .LBB5_2
; %bb.10:                               ;   in Loop: Header=BB5_3 Depth=1
	v_dual_mov_b32 v19, v15 :: v_dual_lshlrev_b32 v0, 1, v15
	s_mov_b32 s22, 0
	s_delay_alu instid0(VALU_DEP_1) | instskip(SKIP_1) | instid1(VALU_DEP_2)
	v_mad_nc_u64_u32 v[8:9], s36, v6, v[0:1]
	v_lshlrev_b32_e32 v0, 1, v16
	v_mad_u32 v6, s37, v6, v9
	s_delay_alu instid0(VALU_DEP_2) | instskip(NEXT) | instid1(VALU_DEP_2)
	v_mad_nc_u64_u32 v[20:21], s14, v8, v[0:1]
	v_mad_u32 v0, s36, v7, v6
	s_delay_alu instid0(VALU_DEP_2) | instskip(NEXT) | instid1(VALU_DEP_1)
	v_mad_u32 v6, s15, v8, v21
	v_mad_u32 v21, s14, v0, v6
	v_mov_b32_e32 v0, 0
	s_wait_kmcnt 0x0
	s_delay_alu instid0(VALU_DEP_2)
	v_add_nc_u64_e32 v[6:7], s[26:27], v[20:21]
.LBB5_11:                               ;   Parent Loop BB5_3 Depth=1
                                        ; =>  This Loop Header: Depth=2
                                        ;       Child Loop BB5_12 Depth 3
	s_delay_alu instid0(VALU_DEP_1)
	v_mov_b64_e32 v[8:9], v[6:7]
	v_mov_b32_e32 v20, v16
	s_mov_b32 s41, 0
.LBB5_12:                               ;   Parent Loop BB5_3 Depth=1
                                        ;     Parent Loop BB5_11 Depth=2
                                        ; =>    This Inner Loop Header: Depth=3
	global_load_u16 v21, v[8:9], off
	s_wait_xcnt 0x0
	v_add_nc_u64_e32 v[8:9], 2, v[8:9]
	s_wait_loadcnt 0x0
	v_cvt_f32_f16_e32 v21, v21
	s_delay_alu instid0(VALU_DEP_1) | instskip(NEXT) | instid1(VALU_DEP_1)
	v_dual_add_nc_u32 v20, 1, v20 :: v_dual_add_f32 v0, v0, v21
	v_cmp_ge_i32_e32 vcc_lo, v20, v18
	s_or_b32 s41, vcc_lo, s41
	s_delay_alu instid0(SALU_CYCLE_1)
	s_and_not1_b32 exec_lo, exec_lo, s41
	s_cbranch_execnz .LBB5_12
; %bb.13:                               ;   in Loop: Header=BB5_11 Depth=2
	s_or_b32 exec_lo, exec_lo, s41
	v_add_nc_u32_e32 v19, 1, v19
	v_add_nc_u64_e32 v[6:7], s[38:39], v[6:7]
	s_delay_alu instid0(VALU_DEP_2) | instskip(SKIP_1) | instid1(SALU_CYCLE_1)
	v_cmp_ge_i32_e32 vcc_lo, v19, v17
	s_or_b32 s22, vcc_lo, s22
	s_and_not1_b32 exec_lo, exec_lo, s22
	s_cbranch_execnz .LBB5_11
; %bb.14:                               ;   in Loop: Header=BB5_3 Depth=1
	s_or_b32 exec_lo, exec_lo, s22
	v_dual_sub_nc_u32 v6, v13, v11 :: v_dual_sub_nc_u32 v7, v14, v12
	v_dual_sub_nc_u32 v8, v17, v15 :: v_dual_sub_nc_u32 v9, v18, v16
	s_delay_alu instid0(VALU_DEP_2) | instskip(NEXT) | instid1(VALU_DEP_2)
	v_mul_lo_u32 v6, v6, v7
	v_mul_lo_u32 v7, v8, v9
	s_delay_alu instid0(VALU_DEP_1) | instskip(NEXT) | instid1(VALU_DEP_1)
	v_cndmask_b32_e64 v6, v7, v6, s2
	v_cndmask_b32_e64 v6, v6, s6, s3
	s_delay_alu instid0(VALU_DEP_1) | instskip(NEXT) | instid1(VALU_DEP_1)
	v_cvt_f32_i32_e32 v6, v6
	v_div_scale_f32 v7, null, v6, v6, v0
	s_delay_alu instid0(VALU_DEP_1) | instskip(SKIP_1) | instid1(TRANS32_DEP_1)
	v_rcp_f32_e32 v8, v7
	v_nop
	v_fma_f32 v9, -v7, v8, 1.0
	s_delay_alu instid0(VALU_DEP_1) | instskip(SKIP_1) | instid1(VALU_DEP_1)
	v_fmac_f32_e32 v8, v9, v8
	v_div_scale_f32 v9, vcc_lo, v0, v6, v0
	v_mul_f32_e32 v11, v9, v8
	s_delay_alu instid0(VALU_DEP_1) | instskip(NEXT) | instid1(VALU_DEP_1)
	v_fma_f32 v12, -v7, v11, v9
	v_fmac_f32_e32 v11, v12, v8
	s_delay_alu instid0(VALU_DEP_1) | instskip(NEXT) | instid1(VALU_DEP_1)
	v_fma_f32 v7, -v7, v11, v9
	v_div_fmas_f32 v7, v7, v8, v11
	s_delay_alu instid0(VALU_DEP_1) | instskip(NEXT) | instid1(VALU_DEP_1)
	v_div_fixup_f32 v0, v7, v6, v0
	v_cvt_f16_f32_e32 v0, v0
	global_store_b16 v[4:5], v0, off
	s_branch .LBB5_2
.LBB5_15:
	s_endpgm
	.section	.rodata,"a",@progbits
	.p2align	6, 0x0
	.amdhsa_kernel _ZN2at6native12_GLOBAL__N_125avg_pool2d_out_cuda_frameIN3c104HalfEfEEviPKT_lllliiiiiiiPS5_ibb
		.amdhsa_group_segment_fixed_size 0
		.amdhsa_private_segment_fixed_size 0
		.amdhsa_kernarg_size 352
		.amdhsa_user_sgpr_count 2
		.amdhsa_user_sgpr_dispatch_ptr 0
		.amdhsa_user_sgpr_queue_ptr 0
		.amdhsa_user_sgpr_kernarg_segment_ptr 1
		.amdhsa_user_sgpr_dispatch_id 0
		.amdhsa_user_sgpr_kernarg_preload_length 0
		.amdhsa_user_sgpr_kernarg_preload_offset 0
		.amdhsa_user_sgpr_private_segment_size 0
		.amdhsa_wavefront_size32 1
		.amdhsa_uses_dynamic_stack 0
		.amdhsa_enable_private_segment 0
		.amdhsa_system_sgpr_workgroup_id_x 1
		.amdhsa_system_sgpr_workgroup_id_y 0
		.amdhsa_system_sgpr_workgroup_id_z 0
		.amdhsa_system_sgpr_workgroup_info 0
		.amdhsa_system_vgpr_workitem_id 0
		.amdhsa_next_free_vgpr 22
		.amdhsa_next_free_sgpr 54
		.amdhsa_named_barrier_count 0
		.amdhsa_reserve_vcc 1
		.amdhsa_float_round_mode_32 0
		.amdhsa_float_round_mode_16_64 0
		.amdhsa_float_denorm_mode_32 3
		.amdhsa_float_denorm_mode_16_64 3
		.amdhsa_fp16_overflow 0
		.amdhsa_memory_ordered 1
		.amdhsa_forward_progress 1
		.amdhsa_inst_pref_size 14
		.amdhsa_round_robin_scheduling 0
		.amdhsa_exception_fp_ieee_invalid_op 0
		.amdhsa_exception_fp_denorm_src 0
		.amdhsa_exception_fp_ieee_div_zero 0
		.amdhsa_exception_fp_ieee_overflow 0
		.amdhsa_exception_fp_ieee_underflow 0
		.amdhsa_exception_fp_ieee_inexact 0
		.amdhsa_exception_int_div_zero 0
	.end_amdhsa_kernel
	.section	.text._ZN2at6native12_GLOBAL__N_125avg_pool2d_out_cuda_frameIN3c104HalfEfEEviPKT_lllliiiiiiiPS5_ibb,"axG",@progbits,_ZN2at6native12_GLOBAL__N_125avg_pool2d_out_cuda_frameIN3c104HalfEfEEviPKT_lllliiiiiiiPS5_ibb,comdat
.Lfunc_end5:
	.size	_ZN2at6native12_GLOBAL__N_125avg_pool2d_out_cuda_frameIN3c104HalfEfEEviPKT_lllliiiiiiiPS5_ibb, .Lfunc_end5-_ZN2at6native12_GLOBAL__N_125avg_pool2d_out_cuda_frameIN3c104HalfEfEEviPKT_lllliiiiiiiPS5_ibb
                                        ; -- End function
	.set _ZN2at6native12_GLOBAL__N_125avg_pool2d_out_cuda_frameIN3c104HalfEfEEviPKT_lllliiiiiiiPS5_ibb.num_vgpr, 22
	.set _ZN2at6native12_GLOBAL__N_125avg_pool2d_out_cuda_frameIN3c104HalfEfEEviPKT_lllliiiiiiiPS5_ibb.num_agpr, 0
	.set _ZN2at6native12_GLOBAL__N_125avg_pool2d_out_cuda_frameIN3c104HalfEfEEviPKT_lllliiiiiiiPS5_ibb.numbered_sgpr, 54
	.set _ZN2at6native12_GLOBAL__N_125avg_pool2d_out_cuda_frameIN3c104HalfEfEEviPKT_lllliiiiiiiPS5_ibb.num_named_barrier, 0
	.set _ZN2at6native12_GLOBAL__N_125avg_pool2d_out_cuda_frameIN3c104HalfEfEEviPKT_lllliiiiiiiPS5_ibb.private_seg_size, 0
	.set _ZN2at6native12_GLOBAL__N_125avg_pool2d_out_cuda_frameIN3c104HalfEfEEviPKT_lllliiiiiiiPS5_ibb.uses_vcc, 1
	.set _ZN2at6native12_GLOBAL__N_125avg_pool2d_out_cuda_frameIN3c104HalfEfEEviPKT_lllliiiiiiiPS5_ibb.uses_flat_scratch, 0
	.set _ZN2at6native12_GLOBAL__N_125avg_pool2d_out_cuda_frameIN3c104HalfEfEEviPKT_lllliiiiiiiPS5_ibb.has_dyn_sized_stack, 0
	.set _ZN2at6native12_GLOBAL__N_125avg_pool2d_out_cuda_frameIN3c104HalfEfEEviPKT_lllliiiiiiiPS5_ibb.has_recursion, 0
	.set _ZN2at6native12_GLOBAL__N_125avg_pool2d_out_cuda_frameIN3c104HalfEfEEviPKT_lllliiiiiiiPS5_ibb.has_indirect_call, 0
	.section	.AMDGPU.csdata,"",@progbits
; Kernel info:
; codeLenInByte = 1768
; TotalNumSgprs: 56
; NumVgprs: 22
; ScratchSize: 0
; MemoryBound: 0
; FloatMode: 240
; IeeeMode: 1
; LDSByteSize: 0 bytes/workgroup (compile time only)
; SGPRBlocks: 0
; VGPRBlocks: 1
; NumSGPRsForWavesPerEU: 56
; NumVGPRsForWavesPerEU: 22
; NamedBarCnt: 0
; Occupancy: 16
; WaveLimiterHint : 0
; COMPUTE_PGM_RSRC2:SCRATCH_EN: 0
; COMPUTE_PGM_RSRC2:USER_SGPR: 2
; COMPUTE_PGM_RSRC2:TRAP_HANDLER: 0
; COMPUTE_PGM_RSRC2:TGID_X_EN: 1
; COMPUTE_PGM_RSRC2:TGID_Y_EN: 0
; COMPUTE_PGM_RSRC2:TGID_Z_EN: 0
; COMPUTE_PGM_RSRC2:TIDIG_COMP_CNT: 0
	.section	.text._ZN2at6native12_GLOBAL__N_130avg_pool2d_out_cuda_frame_nhwcIN3c108BFloat16EfEEviPKT_llliiiiiiiiPS5_ibb,"axG",@progbits,_ZN2at6native12_GLOBAL__N_130avg_pool2d_out_cuda_frame_nhwcIN3c108BFloat16EfEEviPKT_llliiiiiiiiPS5_ibb,comdat
	.globl	_ZN2at6native12_GLOBAL__N_130avg_pool2d_out_cuda_frame_nhwcIN3c108BFloat16EfEEviPKT_llliiiiiiiiPS5_ibb ; -- Begin function _ZN2at6native12_GLOBAL__N_130avg_pool2d_out_cuda_frame_nhwcIN3c108BFloat16EfEEviPKT_llliiiiiiiiPS5_ibb
	.p2align	8
	.type	_ZN2at6native12_GLOBAL__N_130avg_pool2d_out_cuda_frame_nhwcIN3c108BFloat16EfEEviPKT_llliiiiiiiiPS5_ibb,@function
_ZN2at6native12_GLOBAL__N_130avg_pool2d_out_cuda_frame_nhwcIN3c108BFloat16EfEEviPKT_llliiiiiiiiPS5_ibb: ; @_ZN2at6native12_GLOBAL__N_130avg_pool2d_out_cuda_frame_nhwcIN3c108BFloat16EfEEviPKT_llliiiiiiiiPS5_ibb
; %bb.0:
	s_clause 0x1
	s_load_b32 s2, s[0:1], 0x0
	s_load_b32 s4, s[0:1], 0x64
	s_bfe_u32 s3, ttmp6, 0x4000c
	v_mov_b32_e32 v2, 0
	s_add_co_i32 s3, s3, 1
	s_and_b32 s5, ttmp6, 15
	s_mul_i32 s7, ttmp9, s3
	s_getreg_b32 s6, hwreg(HW_REG_IB_STS2, 6, 4)
	v_mov_b32_e32 v1, v2
	s_add_co_i32 s5, s5, s7
	s_mov_b32 s25, 0
	s_wait_kmcnt 0x0
	s_ashr_i32 s3, s2, 31
	s_and_b32 s24, s4, 0xffff
	s_cmp_eq_u32 s6, 0
	s_cselect_b32 s4, ttmp9, s5
	s_delay_alu instid0(SALU_CYCLE_1) | instskip(SKIP_1) | instid1(VALU_DEP_1)
	v_mad_nc_u64_u32 v[0:1], s24, s4, v[0:1]
	s_mov_b32 s4, exec_lo
	v_cmpx_gt_i64_e64 s[2:3], v[0:1]
	s_cbranch_execz .LBB6_21
; %bb.1:
	s_clause 0x3
	s_load_b256 s[4:11], s[0:1], 0x8
	s_load_b128 s[20:23], s[0:1], 0x48
	s_load_b32 s28, s[0:1], 0x54
	s_load_b256 s[12:19], s[0:1], 0x28
	s_add_nc_u64 s[26:27], s[0:1], 0x58
	s_mov_b32 s29, s25
	s_wait_xcnt 0x0
	s_load_b32 s1, s[26:27], 0x0
	s_mov_b64 s[36:37], 0xffffffff
	s_wait_kmcnt 0x0
	v_cvt_f32_u32_e32 v3, s6
	s_bitcmp1_b32 s23, 0
	s_mul_u64 s[30:31], s[10:11], s[8:9]
	s_cselect_b32 s0, -1, 0
	s_bitcmp1_b32 s28, 8
	v_rcp_iflag_f32_e32 v3, v3
	s_cselect_b32 s23, -1, 0
	s_sub_co_i32 s26, 0, s6
	s_ashr_i32 s27, s13, 31
	s_mul_u64 s[34:35], s[10:11], s[6:7]
	s_add_co_i32 s33, s18, s8
	s_add_co_i32 s48, s19, s10
	v_nop
	v_mul_f32_e32 v3, 0x4f7ffffe, v3
	s_mul_i32 s28, s1, s24
	s_lshl_b64 s[30:31], s[30:31], 1
	s_lshl_b64 s[34:35], s[34:35], 1
	;; [unrolled: 1-line block ×3, first 2 shown]
	v_cvt_u32_f32_e32 v3, v3
	s_ashr_i32 s40, s7, 31
	s_ashr_i32 s42, s27, 31
	s_mov_b32 s9, 0
	s_delay_alu instid0(VALU_DEP_1) | instskip(SKIP_2) | instid1(VALU_DEP_1)
	v_mul_lo_u32 v4, s26, v3
	s_mov_b32 s26, s13
	s_ashr_i32 s13, s12, 31
	v_mul_hi_u32 v4, v3, v4
	s_delay_alu instid0(VALU_DEP_1)
	v_add_nc_u32_e32 v10, v3, v4
	s_branch .LBB6_3
.LBB6_2:                                ;   in Loop: Header=BB6_3 Depth=1
	s_or_b32 exec_lo, exec_lo, s1
	v_lshl_add_u64 v[4:5], v[0:1], 1, s[20:21]
	v_add_nc_u64_e32 v[0:1], s[28:29], v[0:1]
	global_store_b16 v[4:5], v7, off
	v_cmp_le_i64_e32 vcc_lo, s[2:3], v[0:1]
	s_or_b32 s9, vcc_lo, s9
	s_wait_xcnt 0x0
	s_and_not1_b32 exec_lo, exec_lo, s9
	s_cbranch_execz .LBB6_21
.LBB6_3:                                ; =>This Loop Header: Depth=1
                                        ;     Child Loop BB6_17 Depth 2
                                        ;       Child Loop BB6_18 Depth 3
	v_or_b32_e32 v3, s7, v1
                                        ; implicit-def: $vgpr4_vgpr5
	s_mov_b32 s1, exec_lo
	s_delay_alu instid0(VALU_DEP_1)
	v_cmpx_ne_u64_e32 0, v[2:3]
	s_xor_b32 s43, exec_lo, s1
	s_cbranch_execz .LBB6_5
; %bb.4:                                ;   in Loop: Header=BB6_3 Depth=1
	s_mov_b32 s41, s40
	v_dual_mov_b32 v9, v2 :: v_dual_ashrrev_i32 v4, 31, v1
	s_add_nc_u64 s[44:45], s[6:7], s[40:41]
	v_mov_b32_e32 v19, v2
	s_xor_b64 s[44:45], s[44:45], s[40:41]
	s_delay_alu instid0(VALU_DEP_2) | instskip(SKIP_3) | instid1(VALU_DEP_1)
	v_mov_b32_e32 v5, v4
	s_cvt_f32_u32 s1, s44
	s_cvt_f32_u32 s24, s45
	s_sub_nc_u64 s[50:51], 0, s[44:45]
	v_add_nc_u64_e32 v[6:7], v[0:1], v[4:5]
	s_delay_alu instid0(SALU_CYCLE_1) | instskip(SKIP_1) | instid1(SALU_CYCLE_2)
	s_fmamk_f32 s1, s24, 0x4f800000, s1
	v_mov_b32_e32 v15, v2
	v_s_rcp_f32 s1, s1
	s_delay_alu instid0(VALU_DEP_2) | instskip(NEXT) | instid1(VALU_DEP_3)
	v_xor_b32_e32 v8, v6, v4
	v_xor_b32_e32 v14, v7, v4
	;; [unrolled: 1-line block ×3, first 2 shown]
	s_delay_alu instid0(TRANS32_DEP_1) | instskip(NEXT) | instid1(SALU_CYCLE_3)
	s_mul_f32 s1, s1, 0x5f7ffffc
	s_mul_f32 s24, s1, 0x2f800000
	s_delay_alu instid0(SALU_CYCLE_3) | instskip(NEXT) | instid1(SALU_CYCLE_3)
	s_trunc_f32 s24, s24
	s_fmamk_f32 s1, s24, 0xcf800000, s1
	s_cvt_u32_f32 s47, s24
	s_delay_alu instid0(SALU_CYCLE_2) | instskip(NEXT) | instid1(SALU_CYCLE_3)
	s_cvt_u32_f32 s46, s1
	s_mul_u64 s[52:53], s[50:51], s[46:47]
	s_delay_alu instid0(SALU_CYCLE_1)
	s_mul_hi_u32 s55, s46, s53
	s_mul_i32 s54, s46, s53
	s_mul_hi_u32 s24, s46, s52
	s_mul_i32 s41, s47, s52
	s_add_nc_u64 s[54:55], s[24:25], s[54:55]
	s_mul_hi_u32 s1, s47, s52
	s_mul_hi_u32 s49, s47, s53
	s_add_co_u32 s24, s54, s41
	s_add_co_ci_u32 s24, s55, s1
	s_mul_i32 s52, s47, s53
	s_add_co_ci_u32 s53, s49, 0
	s_delay_alu instid0(SALU_CYCLE_1) | instskip(NEXT) | instid1(SALU_CYCLE_1)
	s_add_nc_u64 s[52:53], s[24:25], s[52:53]
	s_add_co_u32 s46, s46, s52
	s_cselect_b32 s1, -1, 0
	s_delay_alu instid0(SALU_CYCLE_1) | instskip(SKIP_1) | instid1(SALU_CYCLE_1)
	s_cmp_lg_u32 s1, 0
	s_add_co_ci_u32 s47, s47, s53
	s_mul_u64 s[50:51], s[50:51], s[46:47]
	s_delay_alu instid0(SALU_CYCLE_1)
	s_mul_hi_u32 s53, s46, s51
	s_mul_i32 s52, s46, s51
	s_mul_hi_u32 s24, s46, s50
	s_mul_i32 s41, s47, s50
	s_add_nc_u64 s[52:53], s[24:25], s[52:53]
	s_mul_hi_u32 s1, s47, s50
	s_mul_hi_u32 s49, s47, s51
	s_add_co_u32 s24, s52, s41
	s_add_co_ci_u32 s24, s53, s1
	s_mul_i32 s50, s47, s51
	s_add_co_ci_u32 s51, s49, 0
	s_delay_alu instid0(SALU_CYCLE_1) | instskip(NEXT) | instid1(SALU_CYCLE_1)
	s_add_nc_u64 s[50:51], s[24:25], s[50:51]
	s_add_co_u32 s46, s46, s50
	s_cselect_b32 s1, -1, 0
	v_mul_hi_u32 v18, v8, s46
	s_cmp_lg_u32 s1, 0
	s_add_co_ci_u32 s24, s47, s51
	s_and_b64 s[50:51], s[46:47], s[36:37]
	v_mul_u64_e32 v[12:13], s[24:25], v[8:9]
	v_mul_u64_e32 v[6:7], s[50:51], v[14:15]
	;; [unrolled: 1-line block ×3, first 2 shown]
	s_delay_alu instid0(VALU_DEP_3) | instskip(NEXT) | instid1(VALU_DEP_1)
	v_add_nc_u64_e32 v[12:13], v[18:19], v[12:13]
	v_add_co_u32 v3, vcc_lo, v12, v6
	s_delay_alu instid0(VALU_DEP_2) | instskip(NEXT) | instid1(VALU_DEP_4)
	v_add_co_ci_u32_e32 v18, vcc_lo, v13, v7, vcc_lo
	v_add_co_ci_u32_e32 v17, vcc_lo, 0, v17, vcc_lo
	s_delay_alu instid0(VALU_DEP_1) | instskip(NEXT) | instid1(VALU_DEP_1)
	v_add_nc_u64_e32 v[6:7], v[18:19], v[16:17]
	v_mul_u64_e32 v[12:13], s[44:45], v[6:7]
	s_delay_alu instid0(VALU_DEP_1) | instskip(NEXT) | instid1(VALU_DEP_2)
	v_sub_nc_u32_e32 v3, v14, v13
	v_sub_co_u32 v5, vcc_lo, v8, v12
	s_delay_alu instid0(VALU_DEP_1) | instskip(NEXT) | instid1(VALU_DEP_3)
	v_sub_co_ci_u32_e64 v11, null, v14, v13, vcc_lo
	v_subrev_co_ci_u32_e64 v3, null, s45, v3, vcc_lo
	s_delay_alu instid0(VALU_DEP_3) | instskip(SKIP_1) | instid1(VALU_DEP_3)
	v_sub_co_u32 v8, s1, v5, s44
	v_add_nc_u64_e32 v[12:13], 1, v[6:7]
	v_subrev_co_ci_u32_e64 v3, null, 0, v3, s1
	s_delay_alu instid0(VALU_DEP_3) | instskip(SKIP_1) | instid1(VALU_DEP_3)
	v_cmp_le_u32_e32 vcc_lo, s44, v8
	v_cndmask_b32_e64 v8, 0, -1, vcc_lo
	v_cmp_le_u32_e32 vcc_lo, s45, v3
	v_cndmask_b32_e64 v9, 0, -1, vcc_lo
	;; [unrolled: 2-line block ×4, first 2 shown]
	v_cmp_eq_u32_e32 vcc_lo, s45, v3
	v_cndmask_b32_e32 v3, v9, v8, vcc_lo
	v_cmp_eq_u32_e32 vcc_lo, s45, v11
	v_add_nc_u64_e32 v[8:9], 2, v[6:7]
	v_cndmask_b32_e32 v5, v14, v5, vcc_lo
	s_delay_alu instid0(VALU_DEP_4) | instskip(NEXT) | instid1(VALU_DEP_2)
	v_cmp_ne_u32_e32 vcc_lo, 0, v3
	v_cmp_ne_u32_e64 s1, 0, v5
	s_delay_alu instid0(VALU_DEP_4) | instskip(NEXT) | instid1(VALU_DEP_1)
	v_dual_cndmask_b32 v3, v13, v9, vcc_lo :: v_dual_cndmask_b32 v5, v12, v8, vcc_lo
	v_dual_cndmask_b32 v6, v6, v5, s1 :: v_dual_mov_b32 v5, v4
	s_delay_alu instid0(VALU_DEP_1) | instskip(NEXT) | instid1(VALU_DEP_1)
	v_dual_cndmask_b32 v3, v7, v3, s1 :: v_dual_bitop2_b32 v6, v6, v4 bitop3:0x14
	v_xor_b32_e32 v7, v3, v4
	s_delay_alu instid0(VALU_DEP_1)
	v_sub_nc_u64_e32 v[4:5], v[6:7], v[4:5]
.LBB6_5:                                ;   in Loop: Header=BB6_3 Depth=1
	s_and_not1_saveexec_b32 s1, s43
	s_cbranch_execz .LBB6_7
; %bb.6:                                ;   in Loop: Header=BB6_3 Depth=1
	v_mul_hi_u32 v3, v0, v10
	s_delay_alu instid0(VALU_DEP_1) | instskip(NEXT) | instid1(VALU_DEP_1)
	v_mul_lo_u32 v4, v3, s6
	v_dual_add_nc_u32 v5, 1, v3 :: v_dual_sub_nc_u32 v4, v0, v4
	s_delay_alu instid0(VALU_DEP_1) | instskip(SKIP_1) | instid1(VALU_DEP_2)
	v_subrev_nc_u32_e32 v6, s6, v4
	v_cmp_le_u32_e32 vcc_lo, s6, v4
	v_dual_cndmask_b32 v4, v4, v6 :: v_dual_cndmask_b32 v3, v3, v5
	s_delay_alu instid0(VALU_DEP_1) | instskip(NEXT) | instid1(VALU_DEP_2)
	v_cmp_le_u32_e32 vcc_lo, s6, v4
	v_add_nc_u32_e32 v5, 1, v3
	s_delay_alu instid0(VALU_DEP_1)
	v_dual_cndmask_b32 v4, v3, v5 :: v_dual_mov_b32 v5, v2
.LBB6_7:                                ;   in Loop: Header=BB6_3 Depth=1
	s_or_b32 exec_lo, exec_lo, s1
	s_delay_alu instid0(VALU_DEP_1) | instskip(SKIP_1) | instid1(VALU_DEP_1)
	v_or_b32_e32 v3, s27, v5
                                        ; implicit-def: $vgpr6_vgpr7
	s_mov_b32 s1, exec_lo
	v_cmpx_ne_u64_e32 0, v[2:3]
	s_xor_b32 s41, exec_lo, s1
	s_cbranch_execz .LBB6_9
; %bb.8:                                ;   in Loop: Header=BB6_3 Depth=1
	s_mov_b32 s43, s42
	v_dual_mov_b32 v13, v2 :: v_dual_ashrrev_i32 v6, 31, v5
	s_add_nc_u64 s[44:45], s[26:27], s[42:43]
	s_delay_alu instid0(SALU_CYCLE_1) | instskip(NEXT) | instid1(VALU_DEP_1)
	s_xor_b64 s[44:45], s[44:45], s[42:43]
	v_mov_b32_e32 v7, v6
	s_cvt_f32_u32 s1, s44
	s_cvt_f32_u32 s24, s45
	s_sub_nc_u64 s[50:51], 0, s[44:45]
	s_delay_alu instid0(VALU_DEP_1) | instskip(NEXT) | instid1(SALU_CYCLE_1)
	v_add_nc_u64_e32 v[8:9], v[4:5], v[6:7]
	s_fmamk_f32 s1, s24, 0x4f800000, s1
	v_mov_b32_e32 v17, v2
	s_delay_alu instid0(SALU_CYCLE_2) | instskip(NEXT) | instid1(VALU_DEP_2)
	v_s_rcp_f32 s1, s1
	v_xor_b32_e32 v12, v8, v6
	s_delay_alu instid0(VALU_DEP_3) | instskip(NEXT) | instid1(TRANS32_DEP_1)
	v_dual_mov_b32 v21, v2 :: v_dual_bitop2_b32 v16, v9, v6 bitop3:0x14
	s_mul_f32 s1, s1, 0x5f7ffffc
	s_delay_alu instid0(SALU_CYCLE_3) | instskip(NEXT) | instid1(SALU_CYCLE_3)
	s_mul_f32 s24, s1, 0x2f800000
	s_trunc_f32 s24, s24
	s_delay_alu instid0(SALU_CYCLE_3) | instskip(SKIP_1) | instid1(SALU_CYCLE_2)
	s_fmamk_f32 s1, s24, 0xcf800000, s1
	s_cvt_u32_f32 s47, s24
	s_cvt_u32_f32 s46, s1
	s_delay_alu instid0(SALU_CYCLE_3) | instskip(NEXT) | instid1(SALU_CYCLE_1)
	s_mul_u64 s[52:53], s[50:51], s[46:47]
	s_mul_hi_u32 s55, s46, s53
	s_mul_i32 s54, s46, s53
	s_mul_hi_u32 s24, s46, s52
	s_mul_i32 s43, s47, s52
	s_add_nc_u64 s[54:55], s[24:25], s[54:55]
	s_mul_hi_u32 s1, s47, s52
	s_mul_hi_u32 s49, s47, s53
	s_add_co_u32 s24, s54, s43
	s_add_co_ci_u32 s24, s55, s1
	s_mul_i32 s52, s47, s53
	s_add_co_ci_u32 s53, s49, 0
	s_delay_alu instid0(SALU_CYCLE_1) | instskip(NEXT) | instid1(SALU_CYCLE_1)
	s_add_nc_u64 s[52:53], s[24:25], s[52:53]
	s_add_co_u32 s46, s46, s52
	s_cselect_b32 s1, -1, 0
	s_delay_alu instid0(SALU_CYCLE_1) | instskip(SKIP_1) | instid1(SALU_CYCLE_1)
	s_cmp_lg_u32 s1, 0
	s_add_co_ci_u32 s47, s47, s53
	s_mul_u64 s[50:51], s[50:51], s[46:47]
	s_delay_alu instid0(SALU_CYCLE_1)
	s_mul_hi_u32 s53, s46, s51
	s_mul_i32 s52, s46, s51
	s_mul_hi_u32 s24, s46, s50
	s_mul_i32 s43, s47, s50
	s_add_nc_u64 s[52:53], s[24:25], s[52:53]
	s_mul_hi_u32 s1, s47, s50
	s_mul_hi_u32 s49, s47, s51
	s_add_co_u32 s24, s52, s43
	s_add_co_ci_u32 s24, s53, s1
	s_mul_i32 s50, s47, s51
	s_add_co_ci_u32 s51, s49, 0
	s_delay_alu instid0(SALU_CYCLE_1) | instskip(NEXT) | instid1(SALU_CYCLE_1)
	s_add_nc_u64 s[50:51], s[24:25], s[50:51]
	s_add_co_u32 s46, s46, s50
	s_cselect_b32 s1, -1, 0
	v_mul_hi_u32 v20, v12, s46
	s_cmp_lg_u32 s1, 0
	s_add_co_ci_u32 s24, s47, s51
	s_and_b64 s[50:51], s[46:47], s[36:37]
	v_mul_u64_e32 v[14:15], s[24:25], v[12:13]
	v_mul_u64_e32 v[8:9], s[50:51], v[16:17]
	;; [unrolled: 1-line block ×3, first 2 shown]
	s_delay_alu instid0(VALU_DEP_3) | instskip(NEXT) | instid1(VALU_DEP_1)
	v_add_nc_u64_e32 v[14:15], v[20:21], v[14:15]
	v_add_co_u32 v3, vcc_lo, v14, v8
	s_delay_alu instid0(VALU_DEP_2) | instskip(NEXT) | instid1(VALU_DEP_4)
	v_add_co_ci_u32_e32 v20, vcc_lo, v15, v9, vcc_lo
	v_add_co_ci_u32_e32 v19, vcc_lo, 0, v19, vcc_lo
	s_delay_alu instid0(VALU_DEP_1) | instskip(NEXT) | instid1(VALU_DEP_1)
	v_add_nc_u64_e32 v[8:9], v[20:21], v[18:19]
	v_mul_u64_e32 v[14:15], s[44:45], v[8:9]
	s_delay_alu instid0(VALU_DEP_1) | instskip(NEXT) | instid1(VALU_DEP_2)
	v_sub_nc_u32_e32 v3, v16, v15
	v_sub_co_u32 v7, vcc_lo, v12, v14
	s_delay_alu instid0(VALU_DEP_1) | instskip(NEXT) | instid1(VALU_DEP_3)
	v_sub_co_ci_u32_e64 v16, null, v16, v15, vcc_lo
	v_subrev_co_ci_u32_e64 v3, null, s45, v3, vcc_lo
	s_delay_alu instid0(VALU_DEP_3) | instskip(SKIP_1) | instid1(VALU_DEP_3)
	v_sub_co_u32 v11, s1, v7, s44
	v_add_nc_u64_e32 v[14:15], 1, v[8:9]
	v_subrev_co_ci_u32_e64 v3, null, 0, v3, s1
	s_delay_alu instid0(VALU_DEP_3) | instskip(SKIP_1) | instid1(VALU_DEP_3)
	v_cmp_le_u32_e32 vcc_lo, s44, v11
	v_cndmask_b32_e64 v11, 0, -1, vcc_lo
	v_cmp_le_u32_e32 vcc_lo, s45, v3
	v_cndmask_b32_e64 v12, 0, -1, vcc_lo
	;; [unrolled: 2-line block ×4, first 2 shown]
	v_cmp_eq_u32_e32 vcc_lo, s45, v3
	v_cndmask_b32_e32 v3, v12, v11, vcc_lo
	v_cmp_eq_u32_e32 vcc_lo, s45, v16
	v_add_nc_u64_e32 v[12:13], 2, v[8:9]
	v_cndmask_b32_e32 v7, v17, v7, vcc_lo
	s_delay_alu instid0(VALU_DEP_4) | instskip(NEXT) | instid1(VALU_DEP_3)
	v_cmp_ne_u32_e32 vcc_lo, 0, v3
	v_cndmask_b32_e32 v3, v15, v13, vcc_lo
	s_delay_alu instid0(VALU_DEP_3) | instskip(SKIP_1) | instid1(VALU_DEP_2)
	v_cmp_ne_u32_e64 s1, 0, v7
	v_dual_cndmask_b32 v7, v14, v12, vcc_lo :: v_dual_bitop2_b32 v6, s42, v6 bitop3:0x14
	v_cndmask_b32_e64 v3, v9, v3, s1
	s_delay_alu instid0(VALU_DEP_2) | instskip(NEXT) | instid1(VALU_DEP_2)
	v_dual_cndmask_b32 v8, v8, v7, s1 :: v_dual_mov_b32 v7, v6
	v_xor_b32_e32 v9, v3, v6
	s_delay_alu instid0(VALU_DEP_2) | instskip(NEXT) | instid1(VALU_DEP_1)
	v_xor_b32_e32 v8, v8, v6
	v_sub_nc_u64_e32 v[6:7], v[8:9], v[6:7]
.LBB6_9:                                ;   in Loop: Header=BB6_3 Depth=1
	s_and_not1_saveexec_b32 s1, s41
	s_cbranch_execz .LBB6_11
; %bb.10:                               ;   in Loop: Header=BB6_3 Depth=1
	v_cvt_f32_u32_e32 v3, s26
	s_sub_co_i32 s24, 0, s26
	s_delay_alu instid0(VALU_DEP_1) | instskip(SKIP_1) | instid1(TRANS32_DEP_1)
	v_rcp_iflag_f32_e32 v3, v3
	v_nop
	v_mul_f32_e32 v3, 0x4f7ffffe, v3
	s_delay_alu instid0(VALU_DEP_1) | instskip(NEXT) | instid1(VALU_DEP_1)
	v_cvt_u32_f32_e32 v3, v3
	v_mul_lo_u32 v6, s24, v3
	s_delay_alu instid0(VALU_DEP_1) | instskip(NEXT) | instid1(VALU_DEP_1)
	v_mul_hi_u32 v6, v3, v6
	v_add_nc_u32_e32 v3, v3, v6
	s_delay_alu instid0(VALU_DEP_1) | instskip(NEXT) | instid1(VALU_DEP_1)
	v_mul_hi_u32 v3, v4, v3
	v_mul_lo_u32 v6, v3, s26
	s_delay_alu instid0(VALU_DEP_1) | instskip(NEXT) | instid1(VALU_DEP_1)
	v_dual_add_nc_u32 v7, 1, v3 :: v_dual_sub_nc_u32 v6, v4, v6
	v_subrev_nc_u32_e32 v8, s26, v6
	v_cmp_le_u32_e32 vcc_lo, s26, v6
	s_delay_alu instid0(VALU_DEP_2) | instskip(NEXT) | instid1(VALU_DEP_1)
	v_dual_cndmask_b32 v6, v6, v8 :: v_dual_cndmask_b32 v3, v3, v7
	v_cmp_le_u32_e32 vcc_lo, s26, v6
	s_delay_alu instid0(VALU_DEP_2) | instskip(NEXT) | instid1(VALU_DEP_1)
	v_add_nc_u32_e32 v7, 1, v3
	v_dual_cndmask_b32 v6, v3, v7 :: v_dual_mov_b32 v7, v2
.LBB6_11:                               ;   in Loop: Header=BB6_3 Depth=1
	s_or_b32 exec_lo, exec_lo, s1
	s_delay_alu instid0(VALU_DEP_1) | instskip(SKIP_1) | instid1(VALU_DEP_1)
	v_or_b32_e32 v3, s13, v7
                                        ; implicit-def: $vgpr8_vgpr9
	s_mov_b32 s1, exec_lo
	v_cmpx_ne_u64_e32 0, v[2:3]
	s_xor_b32 s41, exec_lo, s1
	s_cbranch_execz .LBB6_13
; %bb.12:                               ;   in Loop: Header=BB6_3 Depth=1
	s_ashr_i32 s44, s13, 31
	v_dual_mov_b32 v15, v2 :: v_dual_ashrrev_i32 v8, 31, v7
	s_mov_b32 s45, s44
	v_mov_b32_e32 v19, v2
	s_add_nc_u64 s[46:47], s[12:13], s[44:45]
	s_delay_alu instid0(VALU_DEP_2)
	v_mov_b32_e32 v9, v8
	s_xor_b64 s[46:47], s[46:47], s[44:45]
	v_mov_b32_e32 v23, v2
	s_cvt_f32_u32 s1, s46
	s_cvt_f32_u32 s24, s47
	s_sub_nc_u64 s[52:53], 0, s[46:47]
	v_add_nc_u64_e32 v[12:13], v[6:7], v[8:9]
	s_delay_alu instid0(SALU_CYCLE_1) | instskip(NEXT) | instid1(SALU_CYCLE_3)
	s_fmamk_f32 s1, s24, 0x4f800000, s1
	v_s_rcp_f32 s1, s1
	s_delay_alu instid0(VALU_DEP_1) | instskip(NEXT) | instid1(VALU_DEP_2)
	v_xor_b32_e32 v14, v12, v8
	v_xor_b32_e32 v18, v13, v8
	s_delay_alu instid0(TRANS32_DEP_1) | instskip(NEXT) | instid1(SALU_CYCLE_3)
	s_mul_f32 s1, s1, 0x5f7ffffc
	s_mul_f32 s24, s1, 0x2f800000
	s_delay_alu instid0(SALU_CYCLE_3) | instskip(NEXT) | instid1(SALU_CYCLE_3)
	s_trunc_f32 s24, s24
	s_fmamk_f32 s1, s24, 0xcf800000, s1
	s_cvt_u32_f32 s51, s24
	s_delay_alu instid0(SALU_CYCLE_2) | instskip(NEXT) | instid1(SALU_CYCLE_3)
	s_cvt_u32_f32 s50, s1
	s_mul_u64 s[54:55], s[52:53], s[50:51]
	s_delay_alu instid0(SALU_CYCLE_1)
	s_mul_hi_u32 s57, s50, s55
	s_mul_i32 s56, s50, s55
	s_mul_hi_u32 s24, s50, s54
	s_mul_i32 s43, s51, s54
	s_add_nc_u64 s[56:57], s[24:25], s[56:57]
	s_mul_hi_u32 s1, s51, s54
	s_mul_hi_u32 s45, s51, s55
	s_add_co_u32 s24, s56, s43
	s_add_co_ci_u32 s24, s57, s1
	s_mul_i32 s54, s51, s55
	s_add_co_ci_u32 s55, s45, 0
	s_delay_alu instid0(SALU_CYCLE_1) | instskip(NEXT) | instid1(SALU_CYCLE_1)
	s_add_nc_u64 s[54:55], s[24:25], s[54:55]
	s_add_co_u32 s50, s50, s54
	s_cselect_b32 s1, -1, 0
	s_delay_alu instid0(SALU_CYCLE_1) | instskip(SKIP_1) | instid1(SALU_CYCLE_1)
	s_cmp_lg_u32 s1, 0
	s_add_co_ci_u32 s51, s51, s55
	s_mul_u64 s[52:53], s[52:53], s[50:51]
	s_delay_alu instid0(SALU_CYCLE_1)
	s_mul_hi_u32 s55, s50, s53
	s_mul_i32 s54, s50, s53
	s_mul_hi_u32 s24, s50, s52
	s_mul_i32 s43, s51, s52
	s_add_nc_u64 s[54:55], s[24:25], s[54:55]
	s_mul_hi_u32 s1, s51, s52
	s_mul_hi_u32 s45, s51, s53
	s_add_co_u32 s24, s54, s43
	s_add_co_ci_u32 s24, s55, s1
	s_mul_i32 s52, s51, s53
	s_add_co_ci_u32 s53, s45, 0
	s_delay_alu instid0(SALU_CYCLE_1) | instskip(NEXT) | instid1(SALU_CYCLE_1)
	s_add_nc_u64 s[52:53], s[24:25], s[52:53]
	s_add_co_u32 s50, s50, s52
	s_cselect_b32 s1, -1, 0
	v_mul_hi_u32 v22, v14, s50
	s_cmp_lg_u32 s1, 0
	s_add_co_ci_u32 s24, s51, s53
	s_and_b64 s[52:53], s[50:51], s[36:37]
	v_mul_u64_e32 v[16:17], s[24:25], v[14:15]
	v_mul_u64_e32 v[12:13], s[52:53], v[18:19]
	;; [unrolled: 1-line block ×3, first 2 shown]
	s_delay_alu instid0(VALU_DEP_3) | instskip(NEXT) | instid1(VALU_DEP_1)
	v_add_nc_u64_e32 v[16:17], v[22:23], v[16:17]
	v_add_co_u32 v3, vcc_lo, v16, v12
	s_delay_alu instid0(VALU_DEP_2) | instskip(NEXT) | instid1(VALU_DEP_4)
	v_add_co_ci_u32_e32 v22, vcc_lo, v17, v13, vcc_lo
	v_add_co_ci_u32_e32 v21, vcc_lo, 0, v21, vcc_lo
	s_delay_alu instid0(VALU_DEP_1) | instskip(NEXT) | instid1(VALU_DEP_1)
	v_add_nc_u64_e32 v[12:13], v[22:23], v[20:21]
	v_mul_u64_e32 v[16:17], s[46:47], v[12:13]
	s_delay_alu instid0(VALU_DEP_1) | instskip(NEXT) | instid1(VALU_DEP_2)
	v_sub_nc_u32_e32 v3, v18, v17
	v_sub_co_u32 v7, vcc_lo, v14, v16
	s_delay_alu instid0(VALU_DEP_1) | instskip(NEXT) | instid1(VALU_DEP_3)
	v_sub_co_ci_u32_e64 v11, null, v18, v17, vcc_lo
	v_subrev_co_ci_u32_e64 v3, null, s47, v3, vcc_lo
	s_delay_alu instid0(VALU_DEP_3) | instskip(SKIP_1) | instid1(VALU_DEP_3)
	v_sub_co_u32 v9, s1, v7, s46
	v_add_nc_u64_e32 v[16:17], 1, v[12:13]
	v_subrev_co_ci_u32_e64 v3, null, 0, v3, s1
	s_delay_alu instid0(VALU_DEP_3) | instskip(SKIP_1) | instid1(VALU_DEP_3)
	v_cmp_le_u32_e32 vcc_lo, s46, v9
	v_cndmask_b32_e64 v9, 0, -1, vcc_lo
	v_cmp_le_u32_e32 vcc_lo, s47, v3
	v_cndmask_b32_e64 v14, 0, -1, vcc_lo
	;; [unrolled: 2-line block ×4, first 2 shown]
	v_cmp_eq_u32_e32 vcc_lo, s47, v3
	v_cndmask_b32_e32 v3, v14, v9, vcc_lo
	v_cmp_eq_u32_e32 vcc_lo, s47, v11
	v_add_nc_u64_e32 v[14:15], 2, v[12:13]
	v_cndmask_b32_e32 v7, v18, v7, vcc_lo
	s_delay_alu instid0(VALU_DEP_4) | instskip(NEXT) | instid1(VALU_DEP_2)
	v_cmp_ne_u32_e32 vcc_lo, 0, v3
	v_cmp_ne_u32_e64 s1, 0, v7
	s_delay_alu instid0(VALU_DEP_4) | instskip(NEXT) | instid1(VALU_DEP_1)
	v_dual_cndmask_b32 v3, v17, v15, vcc_lo :: v_dual_cndmask_b32 v7, v16, v14, vcc_lo
	v_dual_cndmask_b32 v3, v13, v3, s1 :: v_dual_bitop2_b32 v8, s44, v8 bitop3:0x14
	s_delay_alu instid0(VALU_DEP_1) | instskip(NEXT) | instid1(VALU_DEP_1)
	v_dual_cndmask_b32 v7, v12, v7, s1 :: v_dual_bitop2_b32 v13, v3, v8 bitop3:0x14
	v_dual_mov_b32 v9, v8 :: v_dual_bitop2_b32 v12, v7, v8 bitop3:0x14
	s_delay_alu instid0(VALU_DEP_1)
	v_sub_nc_u64_e32 v[8:9], v[12:13], v[8:9]
.LBB6_13:                               ;   in Loop: Header=BB6_3 Depth=1
	s_and_not1_saveexec_b32 s1, s41
	s_cbranch_execz .LBB6_15
; %bb.14:                               ;   in Loop: Header=BB6_3 Depth=1
	v_cvt_f32_u32_e32 v3, s12
	s_sub_co_i32 s24, 0, s12
	s_delay_alu instid0(VALU_DEP_1) | instskip(SKIP_1) | instid1(TRANS32_DEP_1)
	v_rcp_iflag_f32_e32 v3, v3
	v_nop
	v_mul_f32_e32 v3, 0x4f7ffffe, v3
	s_delay_alu instid0(VALU_DEP_1) | instskip(NEXT) | instid1(VALU_DEP_1)
	v_cvt_u32_f32_e32 v3, v3
	v_mul_lo_u32 v7, s24, v3
	s_delay_alu instid0(VALU_DEP_1) | instskip(NEXT) | instid1(VALU_DEP_1)
	v_mul_hi_u32 v7, v3, v7
	v_add_nc_u32_e32 v3, v3, v7
	s_delay_alu instid0(VALU_DEP_1) | instskip(NEXT) | instid1(VALU_DEP_1)
	v_mul_hi_u32 v3, v6, v3
	v_mul_lo_u32 v7, v3, s12
	s_delay_alu instid0(VALU_DEP_1) | instskip(NEXT) | instid1(VALU_DEP_1)
	v_sub_nc_u32_e32 v7, v6, v7
	v_subrev_nc_u32_e32 v9, s12, v7
	v_cmp_le_u32_e32 vcc_lo, s12, v7
	s_delay_alu instid0(VALU_DEP_2) | instskip(NEXT) | instid1(VALU_DEP_1)
	v_dual_cndmask_b32 v7, v7, v9 :: v_dual_add_nc_u32 v8, 1, v3
	v_dual_cndmask_b32 v3, v3, v8, vcc_lo :: v_dual_mov_b32 v9, v2
	s_delay_alu instid0(VALU_DEP_2) | instskip(NEXT) | instid1(VALU_DEP_2)
	v_cmp_le_u32_e32 vcc_lo, s12, v7
	v_add_nc_u32_e32 v8, 1, v3
	s_delay_alu instid0(VALU_DEP_1)
	v_cndmask_b32_e32 v8, v3, v8, vcc_lo
.LBB6_15:                               ;   in Loop: Header=BB6_3 Depth=1
	s_or_b32 exec_lo, exec_lo, s1
	s_delay_alu instid0(VALU_DEP_1) | instskip(SKIP_1) | instid1(VALU_DEP_2)
	v_mul_lo_u32 v3, v8, s12
	v_mul_lo_u32 v7, v6, s26
	v_sub_nc_u32_e32 v3, v6, v3
	s_delay_alu instid0(VALU_DEP_2) | instskip(NEXT) | instid1(VALU_DEP_2)
	v_dual_mov_b32 v7, 0 :: v_dual_sub_nc_u32 v6, v4, v7
	v_mul_lo_u32 v3, s16, v3
	s_delay_alu instid0(VALU_DEP_2) | instskip(NEXT) | instid1(VALU_DEP_2)
	v_mul_lo_u32 v6, s17, v6
	v_subrev_nc_u32_e32 v3, s18, v3
	s_delay_alu instid0(VALU_DEP_2) | instskip(NEXT) | instid1(VALU_DEP_2)
	v_subrev_nc_u32_e32 v11, s19, v6
	v_add_min_i32_e64 v13, v3, s14, s33
	s_delay_alu instid0(VALU_DEP_2) | instskip(SKIP_2) | instid1(VALU_DEP_4)
	v_add_min_i32_e64 v14, v11, s15, s48
	v_max_i32_e32 v12, 0, v3
	v_max_i32_e32 v6, 0, v11
	v_min_i32_e32 v15, s8, v13
	s_delay_alu instid0(VALU_DEP_4) | instskip(NEXT) | instid1(VALU_DEP_2)
	v_min_i32_e32 v16, s10, v14
	v_cmp_gt_i32_e32 vcc_lo, v15, v12
	s_delay_alu instid0(VALU_DEP_2) | instskip(SKIP_1) | instid1(SALU_CYCLE_1)
	v_cmp_gt_i32_e64 s1, v16, v6
	s_and_b32 s24, s1, vcc_lo
	s_and_saveexec_b32 s1, s24
	s_cbranch_execz .LBB6_2
; %bb.16:                               ;   in Loop: Header=BB6_3 Depth=1
	v_dual_mov_b32 v7, v2 :: v_dual_mov_b32 v17, v12
	v_lshlrev_b64_e32 v[4:5], 1, v[4:5]
	s_mov_b32 s24, 0
	s_delay_alu instid0(VALU_DEP_2) | instskip(NEXT) | instid1(VALU_DEP_1)
	v_mad_nc_u64_u32 v[18:19], s10, v12, v[6:7]
	v_mad_u32 v19, s11, v12, v19
	s_delay_alu instid0(VALU_DEP_1) | instskip(NEXT) | instid1(VALU_DEP_1)
	v_lshlrev_b64_e32 v[18:19], 1, v[18:19]
	v_mad_nc_u64_u32 v[18:19], s30, v8, v[18:19]
	s_delay_alu instid0(VALU_DEP_1) | instskip(NEXT) | instid1(VALU_DEP_1)
	v_mad_u32 v7, s31, v8, v19
	v_mad_u32 v19, s30, v9, v7
	v_lshlrev_b64_e32 v[8:9], 1, v[0:1]
	v_mov_b32_e32 v7, 0
	s_delay_alu instid0(VALU_DEP_3) | instskip(NEXT) | instid1(VALU_DEP_1)
	v_sub_nc_u64_e32 v[4:5], v[18:19], v[4:5]
	v_mad_nc_u64_u32 v[8:9], s6, v4, v[8:9]
	s_delay_alu instid0(VALU_DEP_1) | instskip(NEXT) | instid1(VALU_DEP_1)
	v_mad_u32 v4, s7, v4, v9
	v_mad_u32 v9, s6, v5, v4
	s_delay_alu instid0(VALU_DEP_1)
	v_add_nc_u64_e32 v[4:5], s[4:5], v[8:9]
.LBB6_17:                               ;   Parent Loop BB6_3 Depth=1
                                        ; =>  This Loop Header: Depth=2
                                        ;       Child Loop BB6_18 Depth 3
	s_delay_alu instid0(VALU_DEP_1)
	v_mov_b64_e32 v[8:9], v[4:5]
	v_mov_b32_e32 v18, v6
	s_mov_b32 s41, 0
.LBB6_18:                               ;   Parent Loop BB6_3 Depth=1
                                        ;     Parent Loop BB6_17 Depth=2
                                        ; =>    This Inner Loop Header: Depth=3
	global_load_u16 v19, v[8:9], off
	v_add_nc_u32_e32 v18, 1, v18
	s_wait_xcnt 0x0
	v_add_nc_u64_e32 v[8:9], s[38:39], v[8:9]
	s_wait_loadcnt 0x0
	v_lshlrev_b32_e32 v19, 16, v19
	v_cmp_ge_i32_e32 vcc_lo, v18, v16
	s_delay_alu instid0(VALU_DEP_2) | instskip(SKIP_1) | instid1(SALU_CYCLE_1)
	v_add_f32_e32 v7, v7, v19
	s_or_b32 s41, vcc_lo, s41
	s_and_not1_b32 exec_lo, exec_lo, s41
	s_cbranch_execnz .LBB6_18
; %bb.19:                               ;   in Loop: Header=BB6_17 Depth=2
	s_or_b32 exec_lo, exec_lo, s41
	v_add_nc_u32_e32 v17, 1, v17
	v_add_nc_u64_e32 v[4:5], s[34:35], v[4:5]
	s_delay_alu instid0(VALU_DEP_2) | instskip(SKIP_1) | instid1(SALU_CYCLE_1)
	v_cmp_ge_i32_e32 vcc_lo, v17, v15
	s_or_b32 s24, vcc_lo, s24
	s_and_not1_b32 exec_lo, exec_lo, s24
	s_cbranch_execnz .LBB6_17
; %bb.20:                               ;   in Loop: Header=BB6_3 Depth=1
	s_or_b32 exec_lo, exec_lo, s24
	v_dual_sub_nc_u32 v3, v13, v3 :: v_dual_sub_nc_u32 v5, v15, v12
	v_dual_sub_nc_u32 v4, v14, v11 :: v_dual_sub_nc_u32 v6, v16, v6
	s_delay_alu instid0(VALU_DEP_1) | instskip(NEXT) | instid1(VALU_DEP_2)
	v_mul_lo_u32 v3, v3, v4
	v_mul_lo_u32 v4, v5, v6
	s_delay_alu instid0(VALU_DEP_1) | instskip(NEXT) | instid1(VALU_DEP_1)
	v_cndmask_b32_e64 v3, v4, v3, s0
	v_cndmask_b32_e64 v3, v3, s22, s23
	s_delay_alu instid0(VALU_DEP_1) | instskip(NEXT) | instid1(VALU_DEP_1)
	v_cvt_f32_i32_e32 v3, v3
	v_div_scale_f32 v4, null, v3, v3, v7
	s_delay_alu instid0(VALU_DEP_1) | instskip(SKIP_1) | instid1(TRANS32_DEP_1)
	v_rcp_f32_e32 v5, v4
	v_nop
	v_fma_f32 v6, -v4, v5, 1.0
	s_delay_alu instid0(VALU_DEP_1) | instskip(SKIP_1) | instid1(VALU_DEP_1)
	v_fmac_f32_e32 v5, v6, v5
	v_div_scale_f32 v6, vcc_lo, v7, v3, v7
	v_mul_f32_e32 v8, v6, v5
	s_delay_alu instid0(VALU_DEP_1) | instskip(NEXT) | instid1(VALU_DEP_1)
	v_fma_f32 v9, -v4, v8, v6
	v_fmac_f32_e32 v8, v9, v5
	s_delay_alu instid0(VALU_DEP_1) | instskip(NEXT) | instid1(VALU_DEP_1)
	v_fma_f32 v4, -v4, v8, v6
	v_div_fmas_f32 v4, v4, v5, v8
	s_delay_alu instid0(VALU_DEP_1) | instskip(NEXT) | instid1(VALU_DEP_1)
	v_div_fixup_f32 v3, v4, v3, v7
	v_bfe_u32 v4, v3, 16, 1
	v_cmp_o_f32_e32 vcc_lo, v3, v3
	s_delay_alu instid0(VALU_DEP_2) | instskip(NEXT) | instid1(VALU_DEP_1)
	v_add3_u32 v4, v3, v4, 0x7fff
	v_lshrrev_b32_e32 v4, 16, v4
	s_delay_alu instid0(VALU_DEP_1)
	v_cndmask_b32_e32 v7, 0x7fc0, v4, vcc_lo
	s_branch .LBB6_2
.LBB6_21:
	s_endpgm
	.section	.rodata,"a",@progbits
	.p2align	6, 0x0
	.amdhsa_kernel _ZN2at6native12_GLOBAL__N_130avg_pool2d_out_cuda_frame_nhwcIN3c108BFloat16EfEEviPKT_llliiiiiiiiPS5_ibb
		.amdhsa_group_segment_fixed_size 0
		.amdhsa_private_segment_fixed_size 0
		.amdhsa_kernarg_size 344
		.amdhsa_user_sgpr_count 2
		.amdhsa_user_sgpr_dispatch_ptr 0
		.amdhsa_user_sgpr_queue_ptr 0
		.amdhsa_user_sgpr_kernarg_segment_ptr 1
		.amdhsa_user_sgpr_dispatch_id 0
		.amdhsa_user_sgpr_kernarg_preload_length 0
		.amdhsa_user_sgpr_kernarg_preload_offset 0
		.amdhsa_user_sgpr_private_segment_size 0
		.amdhsa_wavefront_size32 1
		.amdhsa_uses_dynamic_stack 0
		.amdhsa_enable_private_segment 0
		.amdhsa_system_sgpr_workgroup_id_x 1
		.amdhsa_system_sgpr_workgroup_id_y 0
		.amdhsa_system_sgpr_workgroup_id_z 0
		.amdhsa_system_sgpr_workgroup_info 0
		.amdhsa_system_vgpr_workitem_id 0
		.amdhsa_next_free_vgpr 24
		.amdhsa_next_free_sgpr 58
		.amdhsa_named_barrier_count 0
		.amdhsa_reserve_vcc 1
		.amdhsa_float_round_mode_32 0
		.amdhsa_float_round_mode_16_64 0
		.amdhsa_float_denorm_mode_32 3
		.amdhsa_float_denorm_mode_16_64 3
		.amdhsa_fp16_overflow 0
		.amdhsa_memory_ordered 1
		.amdhsa_forward_progress 1
		.amdhsa_inst_pref_size 25
		.amdhsa_round_robin_scheduling 0
		.amdhsa_exception_fp_ieee_invalid_op 0
		.amdhsa_exception_fp_denorm_src 0
		.amdhsa_exception_fp_ieee_div_zero 0
		.amdhsa_exception_fp_ieee_overflow 0
		.amdhsa_exception_fp_ieee_underflow 0
		.amdhsa_exception_fp_ieee_inexact 0
		.amdhsa_exception_int_div_zero 0
	.end_amdhsa_kernel
	.section	.text._ZN2at6native12_GLOBAL__N_130avg_pool2d_out_cuda_frame_nhwcIN3c108BFloat16EfEEviPKT_llliiiiiiiiPS5_ibb,"axG",@progbits,_ZN2at6native12_GLOBAL__N_130avg_pool2d_out_cuda_frame_nhwcIN3c108BFloat16EfEEviPKT_llliiiiiiiiPS5_ibb,comdat
.Lfunc_end6:
	.size	_ZN2at6native12_GLOBAL__N_130avg_pool2d_out_cuda_frame_nhwcIN3c108BFloat16EfEEviPKT_llliiiiiiiiPS5_ibb, .Lfunc_end6-_ZN2at6native12_GLOBAL__N_130avg_pool2d_out_cuda_frame_nhwcIN3c108BFloat16EfEEviPKT_llliiiiiiiiPS5_ibb
                                        ; -- End function
	.set _ZN2at6native12_GLOBAL__N_130avg_pool2d_out_cuda_frame_nhwcIN3c108BFloat16EfEEviPKT_llliiiiiiiiPS5_ibb.num_vgpr, 24
	.set _ZN2at6native12_GLOBAL__N_130avg_pool2d_out_cuda_frame_nhwcIN3c108BFloat16EfEEviPKT_llliiiiiiiiPS5_ibb.num_agpr, 0
	.set _ZN2at6native12_GLOBAL__N_130avg_pool2d_out_cuda_frame_nhwcIN3c108BFloat16EfEEviPKT_llliiiiiiiiPS5_ibb.numbered_sgpr, 58
	.set _ZN2at6native12_GLOBAL__N_130avg_pool2d_out_cuda_frame_nhwcIN3c108BFloat16EfEEviPKT_llliiiiiiiiPS5_ibb.num_named_barrier, 0
	.set _ZN2at6native12_GLOBAL__N_130avg_pool2d_out_cuda_frame_nhwcIN3c108BFloat16EfEEviPKT_llliiiiiiiiPS5_ibb.private_seg_size, 0
	.set _ZN2at6native12_GLOBAL__N_130avg_pool2d_out_cuda_frame_nhwcIN3c108BFloat16EfEEviPKT_llliiiiiiiiPS5_ibb.uses_vcc, 1
	.set _ZN2at6native12_GLOBAL__N_130avg_pool2d_out_cuda_frame_nhwcIN3c108BFloat16EfEEviPKT_llliiiiiiiiPS5_ibb.uses_flat_scratch, 0
	.set _ZN2at6native12_GLOBAL__N_130avg_pool2d_out_cuda_frame_nhwcIN3c108BFloat16EfEEviPKT_llliiiiiiiiPS5_ibb.has_dyn_sized_stack, 0
	.set _ZN2at6native12_GLOBAL__N_130avg_pool2d_out_cuda_frame_nhwcIN3c108BFloat16EfEEviPKT_llliiiiiiiiPS5_ibb.has_recursion, 0
	.set _ZN2at6native12_GLOBAL__N_130avg_pool2d_out_cuda_frame_nhwcIN3c108BFloat16EfEEviPKT_llliiiiiiiiPS5_ibb.has_indirect_call, 0
	.section	.AMDGPU.csdata,"",@progbits
; Kernel info:
; codeLenInByte = 3108
; TotalNumSgprs: 60
; NumVgprs: 24
; ScratchSize: 0
; MemoryBound: 0
; FloatMode: 240
; IeeeMode: 1
; LDSByteSize: 0 bytes/workgroup (compile time only)
; SGPRBlocks: 0
; VGPRBlocks: 1
; NumSGPRsForWavesPerEU: 60
; NumVGPRsForWavesPerEU: 24
; NamedBarCnt: 0
; Occupancy: 16
; WaveLimiterHint : 0
; COMPUTE_PGM_RSRC2:SCRATCH_EN: 0
; COMPUTE_PGM_RSRC2:USER_SGPR: 2
; COMPUTE_PGM_RSRC2:TRAP_HANDLER: 0
; COMPUTE_PGM_RSRC2:TGID_X_EN: 1
; COMPUTE_PGM_RSRC2:TGID_Y_EN: 0
; COMPUTE_PGM_RSRC2:TGID_Z_EN: 0
; COMPUTE_PGM_RSRC2:TIDIG_COMP_CNT: 0
	.section	.text._ZN2at6native12_GLOBAL__N_125avg_pool2d_out_cuda_frameIN3c108BFloat16EfEEviPKT_lllliiiiiiiPS5_ibb,"axG",@progbits,_ZN2at6native12_GLOBAL__N_125avg_pool2d_out_cuda_frameIN3c108BFloat16EfEEviPKT_lllliiiiiiiPS5_ibb,comdat
	.globl	_ZN2at6native12_GLOBAL__N_125avg_pool2d_out_cuda_frameIN3c108BFloat16EfEEviPKT_lllliiiiiiiPS5_ibb ; -- Begin function _ZN2at6native12_GLOBAL__N_125avg_pool2d_out_cuda_frameIN3c108BFloat16EfEEviPKT_lllliiiiiiiPS5_ibb
	.p2align	8
	.type	_ZN2at6native12_GLOBAL__N_125avg_pool2d_out_cuda_frameIN3c108BFloat16EfEEviPKT_lllliiiiiiiPS5_ibb,@function
_ZN2at6native12_GLOBAL__N_125avg_pool2d_out_cuda_frameIN3c108BFloat16EfEEviPKT_lllliiiiiiiPS5_ibb: ; @_ZN2at6native12_GLOBAL__N_125avg_pool2d_out_cuda_frameIN3c108BFloat16EfEEviPKT_lllliiiiiiiPS5_ibb
; %bb.0:
	s_clause 0x1
	s_load_b32 s20, s[0:1], 0x0
	s_load_b32 s2, s[0:1], 0x6c
	s_bfe_u32 s3, ttmp6, 0x4000c
	s_and_b32 s4, ttmp6, 15
	s_add_co_i32 s3, s3, 1
	s_getreg_b32 s5, hwreg(HW_REG_IB_STS2, 6, 4)
	s_mul_i32 s3, ttmp9, s3
	v_mov_b32_e32 v1, 0
	s_add_co_i32 s4, s4, s3
	s_mov_b32 s23, 0
	s_wait_kmcnt 0x0
	s_ashr_i32 s21, s20, 31
	s_and_b32 s22, s2, 0xffff
	s_cmp_eq_u32 s5, 0
	s_cselect_b32 s2, ttmp9, s4
	s_delay_alu instid0(SALU_CYCLE_1) | instskip(SKIP_1) | instid1(VALU_DEP_1)
	v_mad_nc_u64_u32 v[2:3], s22, s2, v[0:1]
	s_mov_b32 s2, exec_lo
	v_cmpx_gt_i64_e64 s[20:21], v[2:3]
	s_cbranch_execz .LBB7_13
; %bb.1:
	s_clause 0x3
	s_load_b64 s[24:25], s[0:1], 0x28
	s_load_b128 s[4:7], s[0:1], 0x50
	s_load_b32 s3, s[0:1], 0x5c
	s_load_b128 s[8:11], s[0:1], 0x30
	s_add_nc_u64 s[26:27], s[0:1], 0x60
	s_load_b96 s[16:18], s[0:1], 0x40
	s_load_b32 s28, s[26:27], 0x0
	s_load_b128 s[12:15], s[0:1], 0x18
	s_mov_b32 s31, s23
	s_mov_b64 s[34:35], 0xffffffff
	s_wait_kmcnt 0x0
	v_cvt_f32_u32_e32 v0, s24
	s_bitcmp1_b32 s7, 0
	s_cselect_b32 s2, -1, 0
	s_bitcmp1_b32 s3, 8
	s_delay_alu instid0(VALU_DEP_1)
	v_rcp_iflag_f32_e32 v0, v0
	s_cselect_b32 s3, -1, 0
	s_abs_i32 s7, s8
	s_mul_i32 s28, s28, s22
	s_cvt_f32_u32 s19, s7
	s_ashr_i32 s33, s8, 31
	s_ashr_i32 s40, s25, 31
	v_nop
	v_mul_f32_e32 v0, 0x4f7ffffe, v0
	v_rcp_iflag_f32_e32 v4, s19
	s_sub_co_i32 s19, 0, s24
	s_delay_alu instid0(VALU_DEP_1) | instskip(NEXT) | instid1(TRANS32_DEP_1)
	v_cvt_u32_f32_e32 v0, v0
	v_readfirstlane_b32 s26, v4
	s_delay_alu instid0(VALU_DEP_2)
	v_mul_lo_u32 v4, s19, v0
	s_mul_f32 s29, s26, 0x4f7ffffe
	s_load_b64 s[26:27], s[0:1], 0x8
	s_wait_xcnt 0x0
	s_add_co_i32 s1, s17, s12
	s_add_co_i32 s19, s18, s14
	s_cvt_u32_f32 s0, s29
	s_sub_co_i32 s29, 0, s7
	s_lshl_b64 s[36:37], s[12:13], 1
	s_lshl_b64 s[38:39], s[14:15], 1
	s_delay_alu instid0(VALU_DEP_1)
	v_mul_hi_u32 v4, v0, v4
	s_mul_i32 s22, s29, s0
	s_mov_b32 s29, s23
	s_mul_hi_u32 s22, s0, s22
	s_mov_b32 s13, 0
	s_add_co_i32 s30, s0, s22
	s_delay_alu instid0(VALU_DEP_1)
	v_add_nc_u32_e32 v8, v0, v4
	s_branch .LBB7_3
.LBB7_2:                                ;   in Loop: Header=BB7_3 Depth=1
	s_or_b32 exec_lo, exec_lo, s0
	v_lshl_add_u64 v[4:5], v[2:3], 1, s[4:5]
	v_add_nc_u64_e32 v[2:3], s[28:29], v[2:3]
	global_store_b16 v[4:5], v0, off
	v_cmp_le_i64_e32 vcc_lo, s[20:21], v[2:3]
	s_or_b32 s13, vcc_lo, s13
	s_wait_xcnt 0x0
	s_and_not1_b32 exec_lo, exec_lo, s13
	s_cbranch_execz .LBB7_13
.LBB7_3:                                ; =>This Loop Header: Depth=1
                                        ;     Child Loop BB7_9 Depth 2
                                        ;       Child Loop BB7_10 Depth 3
	v_sub_nc_u32_e32 v0, 0, v2
	s_delay_alu instid0(VALU_DEP_1) | instskip(NEXT) | instid1(VALU_DEP_1)
	v_max_i32_e32 v0, v2, v0
	v_mul_u64_e32 v[4:5], s[30:31], v[0:1]
	s_delay_alu instid0(VALU_DEP_1) | instskip(NEXT) | instid1(VALU_DEP_1)
	v_mul_lo_u32 v4, v5, s7
	v_dual_sub_nc_u32 v0, v0, v4 :: v_dual_add_nc_u32 v4, 1, v5
	s_delay_alu instid0(VALU_DEP_1) | instskip(NEXT) | instid1(VALU_DEP_2)
	v_cmp_le_u32_e32 vcc_lo, s7, v0
	v_cndmask_b32_e32 v4, v5, v4, vcc_lo
	v_subrev_nc_u32_e32 v6, s7, v0
	v_ashrrev_i32_e32 v5, 31, v2
	s_delay_alu instid0(VALU_DEP_2) | instskip(NEXT) | instid1(VALU_DEP_1)
	v_dual_cndmask_b32 v0, v0, v6, vcc_lo :: v_dual_add_nc_u32 v6, 1, v4
	v_cmp_le_u32_e32 vcc_lo, s7, v0
	s_delay_alu instid0(VALU_DEP_2) | instskip(NEXT) | instid1(VALU_DEP_1)
	v_dual_cndmask_b32 v0, v4, v6, vcc_lo :: v_dual_bitop2_b32 v5, s33, v5 bitop3:0x14
	v_dual_mov_b32 v6, v1 :: v_dual_bitop2_b32 v0, v0, v5 bitop3:0x14
	s_delay_alu instid0(VALU_DEP_1) | instskip(NEXT) | instid1(VALU_DEP_1)
	v_sub_nc_u32_e32 v4, v0, v5
	v_ashrrev_i32_e32 v5, 31, v4
	s_delay_alu instid0(VALU_DEP_1) | instskip(NEXT) | instid1(VALU_DEP_1)
	v_or_b32_e32 v7, s25, v5
	v_cmp_ne_u64_e32 vcc_lo, 0, v[6:7]
                                        ; implicit-def: $vgpr6_vgpr7
	s_and_saveexec_b32 s0, vcc_lo
	s_delay_alu instid0(SALU_CYCLE_1)
	s_xor_b32 s44, exec_lo, s0
	s_cbranch_execz .LBB7_5
; %bb.4:                                ;   in Loop: Header=BB7_3 Depth=1
	s_mov_b32 s41, s40
	v_dual_mov_b32 v15, v1 :: v_dual_ashrrev_i32 v6, 31, v5
	s_add_nc_u64 s[42:43], s[24:25], s[40:41]
	v_mov_b32_e32 v19, v1
	s_xor_b64 s[42:43], s[42:43], s[40:41]
	s_delay_alu instid0(VALU_DEP_2) | instskip(SKIP_3) | instid1(VALU_DEP_1)
	v_mov_b32_e32 v7, v6
	s_cvt_f32_u32 s0, s42
	s_cvt_f32_u32 s22, s43
	s_sub_nc_u64 s[48:49], 0, s[42:43]
	v_add_nc_u64_e32 v[10:11], v[4:5], v[6:7]
	s_delay_alu instid0(SALU_CYCLE_1) | instskip(NEXT) | instid1(SALU_CYCLE_3)
	s_fmamk_f32 s0, s22, 0x4f800000, s0
	v_s_rcp_f32 s0, s0
	s_delay_alu instid0(VALU_DEP_1) | instskip(NEXT) | instid1(VALU_DEP_2)
	v_xor_b32_e32 v0, v10, v6
	v_xor_b32_e32 v14, v11, v6
	;; [unrolled: 1-line block ×3, first 2 shown]
	s_delay_alu instid0(TRANS32_DEP_1) | instskip(NEXT) | instid1(SALU_CYCLE_3)
	s_mul_f32 s0, s0, 0x5f7ffffc
	s_mul_f32 s22, s0, 0x2f800000
	s_delay_alu instid0(SALU_CYCLE_3) | instskip(NEXT) | instid1(SALU_CYCLE_3)
	s_trunc_f32 s22, s22
	s_fmamk_f32 s0, s22, 0xcf800000, s0
	s_cvt_u32_f32 s47, s22
	s_delay_alu instid0(SALU_CYCLE_2) | instskip(NEXT) | instid1(SALU_CYCLE_3)
	s_cvt_u32_f32 s46, s0
	s_mul_u64 s[50:51], s[48:49], s[46:47]
	s_delay_alu instid0(SALU_CYCLE_1)
	s_mul_hi_u32 s53, s46, s51
	s_mul_i32 s52, s46, s51
	s_mul_hi_u32 s22, s46, s50
	s_mul_i32 s41, s47, s50
	s_add_nc_u64 s[52:53], s[22:23], s[52:53]
	s_mul_hi_u32 s0, s47, s50
	s_mul_hi_u32 s45, s47, s51
	s_add_co_u32 s22, s52, s41
	s_add_co_ci_u32 s22, s53, s0
	s_mul_i32 s50, s47, s51
	s_add_co_ci_u32 s51, s45, 0
	s_delay_alu instid0(SALU_CYCLE_1) | instskip(NEXT) | instid1(SALU_CYCLE_1)
	s_add_nc_u64 s[50:51], s[22:23], s[50:51]
	s_add_co_u32 s46, s46, s50
	s_cselect_b32 s0, -1, 0
	s_delay_alu instid0(SALU_CYCLE_1) | instskip(SKIP_1) | instid1(SALU_CYCLE_1)
	s_cmp_lg_u32 s0, 0
	s_add_co_ci_u32 s47, s47, s51
	s_mul_u64 s[48:49], s[48:49], s[46:47]
	s_delay_alu instid0(SALU_CYCLE_1)
	s_mul_hi_u32 s51, s46, s49
	s_mul_i32 s50, s46, s49
	s_mul_hi_u32 s22, s46, s48
	s_mul_i32 s41, s47, s48
	s_add_nc_u64 s[50:51], s[22:23], s[50:51]
	s_mul_hi_u32 s0, s47, s48
	s_mul_hi_u32 s45, s47, s49
	s_add_co_u32 s22, s50, s41
	s_add_co_ci_u32 s22, s51, s0
	s_mul_i32 s48, s47, s49
	s_add_co_ci_u32 s49, s45, 0
	s_delay_alu instid0(SALU_CYCLE_1) | instskip(NEXT) | instid1(SALU_CYCLE_1)
	s_add_nc_u64 s[48:49], s[22:23], s[48:49]
	s_add_co_u32 s0, s46, s48
	s_cselect_b32 s22, -1, 0
	v_mul_hi_u32 v18, v0, s0
	s_cmp_lg_u32 s22, 0
	s_add_co_ci_u32 s22, s47, s49
	s_and_b64 s[46:47], s[0:1], s[34:35]
	v_mul_u64_e32 v[12:13], s[22:23], v[0:1]
	v_mul_u64_e32 v[10:11], s[46:47], v[14:15]
	;; [unrolled: 1-line block ×3, first 2 shown]
	s_delay_alu instid0(VALU_DEP_3) | instskip(NEXT) | instid1(VALU_DEP_1)
	v_add_nc_u64_e32 v[12:13], v[18:19], v[12:13]
	v_add_co_u32 v5, vcc_lo, v12, v10
	s_delay_alu instid0(VALU_DEP_2) | instskip(NEXT) | instid1(VALU_DEP_4)
	v_add_co_ci_u32_e32 v18, vcc_lo, v13, v11, vcc_lo
	v_add_co_ci_u32_e32 v17, vcc_lo, 0, v17, vcc_lo
	s_delay_alu instid0(VALU_DEP_1) | instskip(NEXT) | instid1(VALU_DEP_1)
	v_add_nc_u64_e32 v[10:11], v[18:19], v[16:17]
	v_mul_u64_e32 v[12:13], s[42:43], v[10:11]
	s_delay_alu instid0(VALU_DEP_1) | instskip(NEXT) | instid1(VALU_DEP_2)
	v_sub_nc_u32_e32 v5, v14, v13
	v_sub_co_u32 v0, vcc_lo, v0, v12
	s_delay_alu instid0(VALU_DEP_1) | instskip(NEXT) | instid1(VALU_DEP_3)
	v_sub_co_ci_u32_e64 v9, null, v14, v13, vcc_lo
	v_subrev_co_ci_u32_e64 v5, null, s43, v5, vcc_lo
	s_delay_alu instid0(VALU_DEP_3) | instskip(SKIP_1) | instid1(VALU_DEP_3)
	v_sub_co_u32 v7, s0, v0, s42
	v_add_nc_u64_e32 v[14:15], 1, v[10:11]
	v_subrev_co_ci_u32_e64 v5, null, 0, v5, s0
	s_delay_alu instid0(VALU_DEP_3) | instskip(SKIP_1) | instid1(VALU_DEP_3)
	v_cmp_le_u32_e32 vcc_lo, s42, v7
	v_cndmask_b32_e64 v7, 0, -1, vcc_lo
	v_cmp_le_u32_e32 vcc_lo, s43, v5
	v_cndmask_b32_e64 v12, 0, -1, vcc_lo
	;; [unrolled: 2-line block ×4, first 2 shown]
	v_cmp_eq_u32_e32 vcc_lo, s43, v5
	v_cndmask_b32_e32 v5, v12, v7, vcc_lo
	v_cmp_eq_u32_e32 vcc_lo, s43, v9
	v_add_nc_u64_e32 v[12:13], 2, v[10:11]
	v_cndmask_b32_e32 v0, v16, v0, vcc_lo
	s_delay_alu instid0(VALU_DEP_4) | instskip(NEXT) | instid1(VALU_DEP_2)
	v_cmp_ne_u32_e32 vcc_lo, 0, v5
	v_cmp_ne_u32_e64 s0, 0, v0
	s_delay_alu instid0(VALU_DEP_4) | instskip(NEXT) | instid1(VALU_DEP_1)
	v_dual_cndmask_b32 v5, v15, v13 :: v_dual_cndmask_b32 v0, v14, v12
	v_dual_cndmask_b32 v5, v11, v5, s0 :: v_dual_cndmask_b32 v0, v10, v0, s0
	s_delay_alu instid0(VALU_DEP_1) | instskip(NEXT) | instid1(VALU_DEP_2)
	v_dual_mov_b32 v7, v6 :: v_dual_bitop2_b32 v11, v5, v6 bitop3:0x14
	v_xor_b32_e32 v10, v0, v6
	s_delay_alu instid0(VALU_DEP_1)
	v_sub_nc_u64_e32 v[6:7], v[10:11], v[6:7]
.LBB7_5:                                ;   in Loop: Header=BB7_3 Depth=1
	s_and_not1_saveexec_b32 s0, s44
	s_cbranch_execz .LBB7_7
; %bb.6:                                ;   in Loop: Header=BB7_3 Depth=1
	v_mul_hi_u32 v0, v4, v8
	s_delay_alu instid0(VALU_DEP_1) | instskip(NEXT) | instid1(VALU_DEP_1)
	v_mul_lo_u32 v5, v0, s24
	v_dual_add_nc_u32 v6, 1, v0 :: v_dual_sub_nc_u32 v5, v4, v5
	s_delay_alu instid0(VALU_DEP_1) | instskip(SKIP_1) | instid1(VALU_DEP_2)
	v_subrev_nc_u32_e32 v7, s24, v5
	v_cmp_le_u32_e32 vcc_lo, s24, v5
	v_dual_cndmask_b32 v5, v5, v7 :: v_dual_cndmask_b32 v0, v0, v6
	s_delay_alu instid0(VALU_DEP_1) | instskip(NEXT) | instid1(VALU_DEP_2)
	v_cmp_le_u32_e32 vcc_lo, s24, v5
	v_add_nc_u32_e32 v6, 1, v0
	s_delay_alu instid0(VALU_DEP_1) | instskip(NEXT) | instid1(VALU_DEP_1)
	v_cndmask_b32_e32 v0, v0, v6, vcc_lo
	v_mov_b64_e32 v[6:7], v[0:1]
.LBB7_7:                                ;   in Loop: Header=BB7_3 Depth=1
	s_or_b32 exec_lo, exec_lo, s0
	s_delay_alu instid0(VALU_DEP_1) | instskip(SKIP_1) | instid1(VALU_DEP_1)
	v_mul_lo_u32 v0, v6, s24
	v_mul_lo_u32 v5, v4, s8
	v_dual_sub_nc_u32 v0, v4, v0 :: v_dual_sub_nc_u32 v4, v2, v5
	s_delay_alu instid0(VALU_DEP_1) | instskip(NEXT) | instid1(VALU_DEP_2)
	v_mul_lo_u32 v0, s11, v0
	v_mul_lo_u32 v4, v4, s16
	s_delay_alu instid0(VALU_DEP_2) | instskip(NEXT) | instid1(VALU_DEP_2)
	v_subrev_nc_u32_e32 v9, s17, v0
	v_subrev_nc_u32_e32 v10, s18, v4
	s_delay_alu instid0(VALU_DEP_2) | instskip(SKIP_1) | instid1(VALU_DEP_3)
	v_dual_mov_b32 v0, 0 :: v_dual_max_i32 v11, 0, v9
	v_add_min_i32_e64 v13, v9, s9, s1
	v_add_min_i32_e64 v14, v10, s10, s19
	v_max_i32_e32 v12, 0, v10
	s_delay_alu instid0(VALU_DEP_3) | instskip(NEXT) | instid1(VALU_DEP_3)
	v_min_i32_e32 v15, s12, v13
	v_min_i32_e32 v16, s14, v14
	s_delay_alu instid0(VALU_DEP_2) | instskip(NEXT) | instid1(VALU_DEP_2)
	v_cmp_gt_i32_e32 vcc_lo, v15, v11
	v_cmp_gt_i32_e64 s0, v16, v12
	s_and_b32 s22, s0, vcc_lo
	s_delay_alu instid0(SALU_CYCLE_1)
	s_and_saveexec_b32 s0, s22
	s_cbranch_execz .LBB7_2
; %bb.8:                                ;   in Loop: Header=BB7_3 Depth=1
	v_dual_mov_b32 v17, v11 :: v_dual_lshlrev_b32 v0, 1, v11
	s_mov_b32 s22, 0
	s_delay_alu instid0(VALU_DEP_1) | instskip(SKIP_1) | instid1(VALU_DEP_2)
	v_mad_nc_u64_u32 v[4:5], s36, v6, v[0:1]
	v_lshlrev_b32_e32 v0, 1, v12
	v_mad_u32 v5, s37, v6, v5
	s_delay_alu instid0(VALU_DEP_2) | instskip(NEXT) | instid1(VALU_DEP_2)
	v_mad_nc_u64_u32 v[18:19], s14, v4, v[0:1]
	v_mad_u32 v0, s36, v7, v5
	s_delay_alu instid0(VALU_DEP_2) | instskip(NEXT) | instid1(VALU_DEP_1)
	v_mad_u32 v4, s15, v4, v19
	v_mad_u32 v19, s14, v0, v4
	v_mov_b32_e32 v0, 0
	s_wait_kmcnt 0x0
	s_delay_alu instid0(VALU_DEP_2)
	v_add_nc_u64_e32 v[4:5], s[26:27], v[18:19]
.LBB7_9:                                ;   Parent Loop BB7_3 Depth=1
                                        ; =>  This Loop Header: Depth=2
                                        ;       Child Loop BB7_10 Depth 3
	s_delay_alu instid0(VALU_DEP_1)
	v_mov_b64_e32 v[6:7], v[4:5]
	v_mov_b32_e32 v18, v12
	s_mov_b32 s41, 0
.LBB7_10:                               ;   Parent Loop BB7_3 Depth=1
                                        ;     Parent Loop BB7_9 Depth=2
                                        ; =>    This Inner Loop Header: Depth=3
	global_load_u16 v19, v[6:7], off
	v_add_nc_u32_e32 v18, 1, v18
	s_wait_xcnt 0x0
	v_add_nc_u64_e32 v[6:7], 2, v[6:7]
	s_wait_loadcnt 0x0
	v_lshlrev_b32_e32 v19, 16, v19
	v_cmp_ge_i32_e32 vcc_lo, v18, v16
	s_delay_alu instid0(VALU_DEP_2) | instskip(SKIP_1) | instid1(SALU_CYCLE_1)
	v_add_f32_e32 v0, v0, v19
	s_or_b32 s41, vcc_lo, s41
	s_and_not1_b32 exec_lo, exec_lo, s41
	s_cbranch_execnz .LBB7_10
; %bb.11:                               ;   in Loop: Header=BB7_9 Depth=2
	s_or_b32 exec_lo, exec_lo, s41
	v_add_nc_u32_e32 v17, 1, v17
	v_add_nc_u64_e32 v[4:5], s[38:39], v[4:5]
	s_delay_alu instid0(VALU_DEP_2) | instskip(SKIP_1) | instid1(SALU_CYCLE_1)
	v_cmp_ge_i32_e32 vcc_lo, v17, v15
	s_or_b32 s22, vcc_lo, s22
	s_and_not1_b32 exec_lo, exec_lo, s22
	s_cbranch_execnz .LBB7_9
; %bb.12:                               ;   in Loop: Header=BB7_3 Depth=1
	s_or_b32 exec_lo, exec_lo, s22
	v_dual_sub_nc_u32 v4, v13, v9 :: v_dual_sub_nc_u32 v5, v14, v10
	v_dual_sub_nc_u32 v6, v15, v11 :: v_dual_sub_nc_u32 v7, v16, v12
	s_delay_alu instid0(VALU_DEP_2) | instskip(NEXT) | instid1(VALU_DEP_2)
	v_mul_lo_u32 v4, v4, v5
	v_mul_lo_u32 v5, v6, v7
	s_delay_alu instid0(VALU_DEP_1) | instskip(NEXT) | instid1(VALU_DEP_1)
	v_cndmask_b32_e64 v4, v5, v4, s2
	v_cndmask_b32_e64 v4, v4, s6, s3
	s_delay_alu instid0(VALU_DEP_1) | instskip(NEXT) | instid1(VALU_DEP_1)
	v_cvt_f32_i32_e32 v4, v4
	v_div_scale_f32 v5, null, v4, v4, v0
	s_delay_alu instid0(VALU_DEP_1) | instskip(SKIP_1) | instid1(TRANS32_DEP_1)
	v_rcp_f32_e32 v6, v5
	v_nop
	v_fma_f32 v7, -v5, v6, 1.0
	s_delay_alu instid0(VALU_DEP_1) | instskip(SKIP_1) | instid1(VALU_DEP_1)
	v_fmac_f32_e32 v6, v7, v6
	v_div_scale_f32 v7, vcc_lo, v0, v4, v0
	v_mul_f32_e32 v9, v7, v6
	s_delay_alu instid0(VALU_DEP_1) | instskip(NEXT) | instid1(VALU_DEP_1)
	v_fma_f32 v10, -v5, v9, v7
	v_fmac_f32_e32 v9, v10, v6
	s_delay_alu instid0(VALU_DEP_1) | instskip(NEXT) | instid1(VALU_DEP_1)
	v_fma_f32 v5, -v5, v9, v7
	v_div_fmas_f32 v5, v5, v6, v9
	s_delay_alu instid0(VALU_DEP_1) | instskip(NEXT) | instid1(VALU_DEP_1)
	v_div_fixup_f32 v0, v5, v4, v0
	v_bfe_u32 v4, v0, 16, 1
	v_cmp_o_f32_e32 vcc_lo, v0, v0
	s_delay_alu instid0(VALU_DEP_2) | instskip(NEXT) | instid1(VALU_DEP_1)
	v_add3_u32 v4, v0, v4, 0x7fff
	v_lshrrev_b32_e32 v4, 16, v4
	s_delay_alu instid0(VALU_DEP_1)
	v_cndmask_b32_e32 v0, 0x7fc0, v4, vcc_lo
	s_branch .LBB7_2
.LBB7_13:
	s_endpgm
	.section	.rodata,"a",@progbits
	.p2align	6, 0x0
	.amdhsa_kernel _ZN2at6native12_GLOBAL__N_125avg_pool2d_out_cuda_frameIN3c108BFloat16EfEEviPKT_lllliiiiiiiPS5_ibb
		.amdhsa_group_segment_fixed_size 0
		.amdhsa_private_segment_fixed_size 0
		.amdhsa_kernarg_size 352
		.amdhsa_user_sgpr_count 2
		.amdhsa_user_sgpr_dispatch_ptr 0
		.amdhsa_user_sgpr_queue_ptr 0
		.amdhsa_user_sgpr_kernarg_segment_ptr 1
		.amdhsa_user_sgpr_dispatch_id 0
		.amdhsa_user_sgpr_kernarg_preload_length 0
		.amdhsa_user_sgpr_kernarg_preload_offset 0
		.amdhsa_user_sgpr_private_segment_size 0
		.amdhsa_wavefront_size32 1
		.amdhsa_uses_dynamic_stack 0
		.amdhsa_enable_private_segment 0
		.amdhsa_system_sgpr_workgroup_id_x 1
		.amdhsa_system_sgpr_workgroup_id_y 0
		.amdhsa_system_sgpr_workgroup_id_z 0
		.amdhsa_system_sgpr_workgroup_info 0
		.amdhsa_system_vgpr_workitem_id 0
		.amdhsa_next_free_vgpr 20
		.amdhsa_next_free_sgpr 54
		.amdhsa_named_barrier_count 0
		.amdhsa_reserve_vcc 1
		.amdhsa_float_round_mode_32 0
		.amdhsa_float_round_mode_16_64 0
		.amdhsa_float_denorm_mode_32 3
		.amdhsa_float_denorm_mode_16_64 3
		.amdhsa_fp16_overflow 0
		.amdhsa_memory_ordered 1
		.amdhsa_forward_progress 1
		.amdhsa_inst_pref_size 14
		.amdhsa_round_robin_scheduling 0
		.amdhsa_exception_fp_ieee_invalid_op 0
		.amdhsa_exception_fp_denorm_src 0
		.amdhsa_exception_fp_ieee_div_zero 0
		.amdhsa_exception_fp_ieee_overflow 0
		.amdhsa_exception_fp_ieee_underflow 0
		.amdhsa_exception_fp_ieee_inexact 0
		.amdhsa_exception_int_div_zero 0
	.end_amdhsa_kernel
	.section	.text._ZN2at6native12_GLOBAL__N_125avg_pool2d_out_cuda_frameIN3c108BFloat16EfEEviPKT_lllliiiiiiiPS5_ibb,"axG",@progbits,_ZN2at6native12_GLOBAL__N_125avg_pool2d_out_cuda_frameIN3c108BFloat16EfEEviPKT_lllliiiiiiiPS5_ibb,comdat
.Lfunc_end7:
	.size	_ZN2at6native12_GLOBAL__N_125avg_pool2d_out_cuda_frameIN3c108BFloat16EfEEviPKT_lllliiiiiiiPS5_ibb, .Lfunc_end7-_ZN2at6native12_GLOBAL__N_125avg_pool2d_out_cuda_frameIN3c108BFloat16EfEEviPKT_lllliiiiiiiPS5_ibb
                                        ; -- End function
	.set _ZN2at6native12_GLOBAL__N_125avg_pool2d_out_cuda_frameIN3c108BFloat16EfEEviPKT_lllliiiiiiiPS5_ibb.num_vgpr, 20
	.set _ZN2at6native12_GLOBAL__N_125avg_pool2d_out_cuda_frameIN3c108BFloat16EfEEviPKT_lllliiiiiiiPS5_ibb.num_agpr, 0
	.set _ZN2at6native12_GLOBAL__N_125avg_pool2d_out_cuda_frameIN3c108BFloat16EfEEviPKT_lllliiiiiiiPS5_ibb.numbered_sgpr, 54
	.set _ZN2at6native12_GLOBAL__N_125avg_pool2d_out_cuda_frameIN3c108BFloat16EfEEviPKT_lllliiiiiiiPS5_ibb.num_named_barrier, 0
	.set _ZN2at6native12_GLOBAL__N_125avg_pool2d_out_cuda_frameIN3c108BFloat16EfEEviPKT_lllliiiiiiiPS5_ibb.private_seg_size, 0
	.set _ZN2at6native12_GLOBAL__N_125avg_pool2d_out_cuda_frameIN3c108BFloat16EfEEviPKT_lllliiiiiiiPS5_ibb.uses_vcc, 1
	.set _ZN2at6native12_GLOBAL__N_125avg_pool2d_out_cuda_frameIN3c108BFloat16EfEEviPKT_lllliiiiiiiPS5_ibb.uses_flat_scratch, 0
	.set _ZN2at6native12_GLOBAL__N_125avg_pool2d_out_cuda_frameIN3c108BFloat16EfEEviPKT_lllliiiiiiiPS5_ibb.has_dyn_sized_stack, 0
	.set _ZN2at6native12_GLOBAL__N_125avg_pool2d_out_cuda_frameIN3c108BFloat16EfEEviPKT_lllliiiiiiiPS5_ibb.has_recursion, 0
	.set _ZN2at6native12_GLOBAL__N_125avg_pool2d_out_cuda_frameIN3c108BFloat16EfEEviPKT_lllliiiiiiiPS5_ibb.has_indirect_call, 0
	.section	.AMDGPU.csdata,"",@progbits
; Kernel info:
; codeLenInByte = 1768
; TotalNumSgprs: 56
; NumVgprs: 20
; ScratchSize: 0
; MemoryBound: 0
; FloatMode: 240
; IeeeMode: 1
; LDSByteSize: 0 bytes/workgroup (compile time only)
; SGPRBlocks: 0
; VGPRBlocks: 1
; NumSGPRsForWavesPerEU: 56
; NumVGPRsForWavesPerEU: 20
; NamedBarCnt: 0
; Occupancy: 16
; WaveLimiterHint : 0
; COMPUTE_PGM_RSRC2:SCRATCH_EN: 0
; COMPUTE_PGM_RSRC2:USER_SGPR: 2
; COMPUTE_PGM_RSRC2:TRAP_HANDLER: 0
; COMPUTE_PGM_RSRC2:TGID_X_EN: 1
; COMPUTE_PGM_RSRC2:TGID_Y_EN: 0
; COMPUTE_PGM_RSRC2:TGID_Z_EN: 0
; COMPUTE_PGM_RSRC2:TIDIG_COMP_CNT: 0
	.section	.text._ZN2at6native12_GLOBAL__N_139avg_pool2d_backward_out_cuda_frame_nhwcIddiEEvT1_PKT_llliiiiiiiiPS4_ibb,"axG",@progbits,_ZN2at6native12_GLOBAL__N_139avg_pool2d_backward_out_cuda_frame_nhwcIddiEEvT1_PKT_llliiiiiiiiPS4_ibb,comdat
	.globl	_ZN2at6native12_GLOBAL__N_139avg_pool2d_backward_out_cuda_frame_nhwcIddiEEvT1_PKT_llliiiiiiiiPS4_ibb ; -- Begin function _ZN2at6native12_GLOBAL__N_139avg_pool2d_backward_out_cuda_frame_nhwcIddiEEvT1_PKT_llliiiiiiiiPS4_ibb
	.p2align	8
	.type	_ZN2at6native12_GLOBAL__N_139avg_pool2d_backward_out_cuda_frame_nhwcIddiEEvT1_PKT_llliiiiiiiiPS4_ibb,@function
_ZN2at6native12_GLOBAL__N_139avg_pool2d_backward_out_cuda_frame_nhwcIddiEEvT1_PKT_llliiiiiiiiPS4_ibb: ; @_ZN2at6native12_GLOBAL__N_139avg_pool2d_backward_out_cuda_frame_nhwcIddiEEvT1_PKT_llliiiiiiiiPS4_ibb
; %bb.0:
	s_clause 0x1
	s_load_b32 s24, s[0:1], 0x0
	s_load_b32 s2, s[0:1], 0x64
	s_bfe_u32 s3, ttmp6, 0x4000c
	v_mov_b32_e32 v2, 0
	s_add_co_i32 s3, s3, 1
	s_and_b32 s4, ttmp6, 15
	s_mul_i32 s3, ttmp9, s3
	s_getreg_b32 s5, hwreg(HW_REG_IB_STS2, 6, 4)
	v_mov_b32_e32 v1, v2
	s_add_co_i32 s4, s4, s3
	s_wait_kmcnt 0x0
	s_ashr_i32 s25, s24, 31
	s_and_b32 s2, s2, 0xffff
	s_cmp_eq_u32 s5, 0
	s_cselect_b32 s3, ttmp9, s4
	s_mov_b32 s4, exec_lo
	v_mad_nc_u64_u32 v[0:1], s2, s3, v[0:1]
	s_mov_b32 s3, 0
	s_delay_alu instid0(VALU_DEP_1)
	v_cmpx_gt_i64_e64 s[24:25], v[0:1]
	s_cbranch_execz .LBB8_29
; %bb.1:
	s_clause 0x2
	s_load_b128 s[20:23], s[0:1], 0x48
	s_load_b256 s[4:11], s[0:1], 0x28
	s_load_b256 s[12:19], s[0:1], 0x8
	s_add_nc_u64 s[26:27], s[0:1], 0x58
	s_load_b32 s28, s[0:1], 0x54
	s_load_b32 s30, s[26:27], 0x0
	s_wait_xcnt 0x0
	s_mov_b32 s27, s3
	s_mov_b32 s29, s3
	;; [unrolled: 1-line block ×3, first 2 shown]
	s_mov_b64 s[34:35], 0xffffffff
	s_mov_b32 s51, 0
	s_wait_kmcnt 0x0
	s_bitcmp1_b32 s23, 0
	s_mov_b32 s38, s4
	s_cselect_b32 s0, -1, 0
	s_bitcmp1_b32 s28, 8
	s_mul_i32 s26, s30, s2
	s_cselect_b32 s23, -1, 0
	s_abs_i32 s33, s8
	s_abs_i32 s44, s9
	s_cvt_f32_u32 s1, s33
	s_cvt_f32_u32 s2, s44
	v_cvt_f32_u32_e32 v3, s14
	s_sub_co_i32 s28, 0, s33
	v_rcp_iflag_f32_e32 v4, s1
	v_rcp_iflag_f32_e32 v5, s2
	s_sub_co_i32 s30, 0, s44
	v_rcp_iflag_f32_e32 v3, v3
	s_ashr_i32 s39, s4, 31
	s_mov_b32 s40, s5
	s_ashr_i32 s41, s5, 31
	v_readfirstlane_b32 s1, v4
	v_readfirstlane_b32 s2, v5
	s_mul_u64 s[38:39], s[14:15], s[38:39]
	v_mul_f32_e32 v3, 0x4f7ffffe, v3
	s_add_co_i32 s45, s10, s16
	s_mul_f32 s1, s1, 0x4f7ffffe
	s_mul_f32 s2, s2, 0x4f7ffffe
	s_add_co_i32 s46, s11, s18
	v_cvt_u32_f32_e32 v10, v3
	s_cvt_u32_f32 s1, s1
	s_cvt_u32_f32 s2, s2
	s_ashr_i32 s47, s8, 31
	s_ashr_i32 s48, s9, 31
	s_mul_i32 s28, s28, s1
	s_mul_i32 s30, s30, s2
	s_mul_hi_u32 s28, s1, s28
	s_mul_hi_u32 s30, s2, s30
	s_sub_co_i32 s49, 0, s11
	s_sub_co_i32 s50, s7, s11
	s_ashr_i32 s36, s15, 31
	s_mul_u64 s[38:39], s[38:39], s[40:41]
	s_add_co_i32 s28, s1, s28
	s_add_co_i32 s30, s2, s30
	s_branch .LBB8_4
.LBB8_2:                                ;   in Loop: Header=BB8_4 Depth=1
	s_or_b32 exec_lo, exec_lo, s40
.LBB8_3:                                ;   in Loop: Header=BB8_4 Depth=1
	s_delay_alu instid0(SALU_CYCLE_1)
	s_or_b32 exec_lo, exec_lo, s37
	v_lshl_add_u64 v[4:5], v[0:1], 3, s[20:21]
	v_add_nc_u64_e32 v[0:1], s[26:27], v[0:1]
	global_store_b64 v[4:5], v[6:7], off
	v_cmp_le_i64_e32 vcc_lo, s[24:25], v[0:1]
	s_or_b32 s51, vcc_lo, s51
	s_wait_xcnt 0x0
	s_and_not1_b32 exec_lo, exec_lo, s51
	s_cbranch_execz .LBB8_29
.LBB8_4:                                ; =>This Loop Header: Depth=1
                                        ;     Child Loop BB8_24 Depth 2
                                        ;       Child Loop BB8_27 Depth 3
	v_or_b32_e32 v3, s15, v1
                                        ; implicit-def: $vgpr4_vgpr5
	s_mov_b32 s1, exec_lo
	s_delay_alu instid0(VALU_DEP_1)
	v_cmpx_ne_u64_e32 0, v[2:3]
	s_xor_b32 s42, exec_lo, s1
	s_cbranch_execz .LBB8_6
; %bb.5:                                ;   in Loop: Header=BB8_4 Depth=1
	s_mov_b32 s37, s36
	v_dual_mov_b32 v9, v2 :: v_dual_ashrrev_i32 v4, 31, v1
	s_add_nc_u64 s[40:41], s[14:15], s[36:37]
	v_mov_b32_e32 v19, v2
	s_xor_b64 s[40:41], s[40:41], s[36:37]
	s_delay_alu instid0(VALU_DEP_2) | instskip(SKIP_3) | instid1(VALU_DEP_1)
	v_mov_b32_e32 v5, v4
	s_cvt_f32_u32 s1, s40
	s_cvt_f32_u32 s2, s41
	s_sub_nc_u64 s[54:55], 0, s[40:41]
	v_add_nc_u64_e32 v[6:7], v[0:1], v[4:5]
	s_delay_alu instid0(SALU_CYCLE_1) | instskip(SKIP_1) | instid1(SALU_CYCLE_2)
	s_fmamk_f32 s1, s2, 0x4f800000, s1
	v_mov_b32_e32 v15, v2
	v_s_rcp_f32 s1, s1
	s_delay_alu instid0(VALU_DEP_2) | instskip(NEXT) | instid1(VALU_DEP_3)
	v_xor_b32_e32 v8, v6, v4
	v_xor_b32_e32 v14, v7, v4
	;; [unrolled: 1-line block ×3, first 2 shown]
	s_delay_alu instid0(TRANS32_DEP_1) | instskip(NEXT) | instid1(SALU_CYCLE_3)
	s_mul_f32 s1, s1, 0x5f7ffffc
	s_mul_f32 s2, s1, 0x2f800000
	s_delay_alu instid0(SALU_CYCLE_3) | instskip(NEXT) | instid1(SALU_CYCLE_3)
	s_trunc_f32 s2, s2
	s_fmamk_f32 s1, s2, 0xcf800000, s1
	s_cvt_u32_f32 s53, s2
	s_delay_alu instid0(SALU_CYCLE_2) | instskip(NEXT) | instid1(SALU_CYCLE_3)
	s_cvt_u32_f32 s52, s1
	s_mul_u64 s[56:57], s[54:55], s[52:53]
	s_delay_alu instid0(SALU_CYCLE_1)
	s_mul_hi_u32 s59, s52, s57
	s_mul_i32 s58, s52, s57
	s_mul_hi_u32 s2, s52, s56
	s_mul_i32 s37, s53, s56
	s_add_nc_u64 s[58:59], s[2:3], s[58:59]
	s_mul_hi_u32 s1, s53, s56
	s_mul_hi_u32 s43, s53, s57
	s_add_co_u32 s2, s58, s37
	s_add_co_ci_u32 s2, s59, s1
	s_mul_i32 s56, s53, s57
	s_add_co_ci_u32 s57, s43, 0
	s_delay_alu instid0(SALU_CYCLE_1) | instskip(NEXT) | instid1(SALU_CYCLE_1)
	s_add_nc_u64 s[56:57], s[2:3], s[56:57]
	s_add_co_u32 s52, s52, s56
	s_cselect_b32 s1, -1, 0
	s_delay_alu instid0(SALU_CYCLE_1) | instskip(SKIP_1) | instid1(SALU_CYCLE_1)
	s_cmp_lg_u32 s1, 0
	s_add_co_ci_u32 s53, s53, s57
	s_mul_u64 s[54:55], s[54:55], s[52:53]
	s_delay_alu instid0(SALU_CYCLE_1)
	s_mul_hi_u32 s57, s52, s55
	s_mul_i32 s56, s52, s55
	s_mul_hi_u32 s2, s52, s54
	s_mul_i32 s37, s53, s54
	s_add_nc_u64 s[56:57], s[2:3], s[56:57]
	s_mul_hi_u32 s1, s53, s54
	s_mul_hi_u32 s43, s53, s55
	s_add_co_u32 s2, s56, s37
	s_add_co_ci_u32 s2, s57, s1
	s_mul_i32 s54, s53, s55
	s_add_co_ci_u32 s55, s43, 0
	s_delay_alu instid0(SALU_CYCLE_1) | instskip(NEXT) | instid1(SALU_CYCLE_1)
	s_add_nc_u64 s[54:55], s[2:3], s[54:55]
	s_add_co_u32 s52, s52, s54
	s_cselect_b32 s1, -1, 0
	v_mul_hi_u32 v18, v8, s52
	s_cmp_lg_u32 s1, 0
	s_add_co_ci_u32 s2, s53, s55
	s_and_b64 s[54:55], s[52:53], s[34:35]
	v_mul_u64_e32 v[12:13], s[2:3], v[8:9]
	v_mul_u64_e32 v[6:7], s[54:55], v[14:15]
	;; [unrolled: 1-line block ×3, first 2 shown]
	s_delay_alu instid0(VALU_DEP_3) | instskip(NEXT) | instid1(VALU_DEP_1)
	v_add_nc_u64_e32 v[12:13], v[18:19], v[12:13]
	v_add_co_u32 v3, vcc_lo, v12, v6
	s_delay_alu instid0(VALU_DEP_2) | instskip(NEXT) | instid1(VALU_DEP_4)
	v_add_co_ci_u32_e32 v18, vcc_lo, v13, v7, vcc_lo
	v_add_co_ci_u32_e32 v17, vcc_lo, 0, v17, vcc_lo
	s_delay_alu instid0(VALU_DEP_1) | instskip(NEXT) | instid1(VALU_DEP_1)
	v_add_nc_u64_e32 v[6:7], v[18:19], v[16:17]
	v_mul_u64_e32 v[12:13], s[40:41], v[6:7]
	s_delay_alu instid0(VALU_DEP_1) | instskip(NEXT) | instid1(VALU_DEP_2)
	v_sub_nc_u32_e32 v3, v14, v13
	v_sub_co_u32 v5, vcc_lo, v8, v12
	s_delay_alu instid0(VALU_DEP_1) | instskip(NEXT) | instid1(VALU_DEP_3)
	v_sub_co_ci_u32_e64 v11, null, v14, v13, vcc_lo
	v_subrev_co_ci_u32_e64 v3, null, s41, v3, vcc_lo
	s_delay_alu instid0(VALU_DEP_3) | instskip(SKIP_1) | instid1(VALU_DEP_3)
	v_sub_co_u32 v8, s1, v5, s40
	v_add_nc_u64_e32 v[12:13], 1, v[6:7]
	v_subrev_co_ci_u32_e64 v3, null, 0, v3, s1
	s_delay_alu instid0(VALU_DEP_3) | instskip(SKIP_1) | instid1(VALU_DEP_3)
	v_cmp_le_u32_e32 vcc_lo, s40, v8
	v_cndmask_b32_e64 v8, 0, -1, vcc_lo
	v_cmp_le_u32_e32 vcc_lo, s41, v3
	v_cndmask_b32_e64 v9, 0, -1, vcc_lo
	;; [unrolled: 2-line block ×4, first 2 shown]
	v_cmp_eq_u32_e32 vcc_lo, s41, v3
	v_cndmask_b32_e32 v3, v9, v8, vcc_lo
	v_cmp_eq_u32_e32 vcc_lo, s41, v11
	v_add_nc_u64_e32 v[8:9], 2, v[6:7]
	v_cndmask_b32_e32 v5, v14, v5, vcc_lo
	s_delay_alu instid0(VALU_DEP_4) | instskip(NEXT) | instid1(VALU_DEP_2)
	v_cmp_ne_u32_e32 vcc_lo, 0, v3
	v_cmp_ne_u32_e64 s1, 0, v5
	s_delay_alu instid0(VALU_DEP_4) | instskip(NEXT) | instid1(VALU_DEP_1)
	v_dual_cndmask_b32 v3, v13, v9, vcc_lo :: v_dual_cndmask_b32 v5, v12, v8, vcc_lo
	v_dual_cndmask_b32 v6, v6, v5, s1 :: v_dual_mov_b32 v5, v4
	s_delay_alu instid0(VALU_DEP_1) | instskip(NEXT) | instid1(VALU_DEP_1)
	v_dual_cndmask_b32 v3, v7, v3, s1 :: v_dual_bitop2_b32 v6, v6, v4 bitop3:0x14
	v_xor_b32_e32 v7, v3, v4
	s_delay_alu instid0(VALU_DEP_1)
	v_sub_nc_u64_e32 v[4:5], v[6:7], v[4:5]
.LBB8_6:                                ;   in Loop: Header=BB8_4 Depth=1
	s_and_not1_saveexec_b32 s1, s42
	s_cbranch_execz .LBB8_8
; %bb.7:                                ;   in Loop: Header=BB8_4 Depth=1
	s_sub_co_i32 s2, 0, s14
	s_delay_alu instid0(SALU_CYCLE_1) | instskip(NEXT) | instid1(VALU_DEP_1)
	v_mul_lo_u32 v3, s2, v10
	v_mul_hi_u32 v3, v10, v3
	s_delay_alu instid0(VALU_DEP_1) | instskip(NEXT) | instid1(VALU_DEP_1)
	v_add_nc_u32_e32 v3, v10, v3
	v_mul_hi_u32 v3, v0, v3
	s_delay_alu instid0(VALU_DEP_1) | instskip(NEXT) | instid1(VALU_DEP_1)
	v_mul_lo_u32 v4, v3, s14
	v_sub_nc_u32_e32 v4, v0, v4
	s_delay_alu instid0(VALU_DEP_1) | instskip(SKIP_1) | instid1(VALU_DEP_2)
	v_subrev_nc_u32_e32 v6, s14, v4
	v_cmp_le_u32_e32 vcc_lo, s14, v4
	v_dual_cndmask_b32 v4, v4, v6 :: v_dual_add_nc_u32 v5, 1, v3
	s_delay_alu instid0(VALU_DEP_1) | instskip(NEXT) | instid1(VALU_DEP_2)
	v_cndmask_b32_e32 v3, v3, v5, vcc_lo
	v_cmp_le_u32_e32 vcc_lo, s14, v4
	s_delay_alu instid0(VALU_DEP_2) | instskip(NEXT) | instid1(VALU_DEP_1)
	v_add_nc_u32_e32 v5, 1, v3
	v_dual_cndmask_b32 v4, v3, v5 :: v_dual_mov_b32 v5, v2
.LBB8_8:                                ;   in Loop: Header=BB8_4 Depth=1
	s_or_b32 exec_lo, exec_lo, s1
	s_delay_alu instid0(VALU_DEP_1) | instskip(SKIP_1) | instid1(VALU_DEP_1)
	v_or_b32_e32 v3, s19, v5
                                        ; implicit-def: $vgpr6_vgpr7
	s_mov_b32 s1, exec_lo
	v_cmpx_ne_u64_e32 0, v[2:3]
	s_xor_b32 s37, exec_lo, s1
	s_cbranch_execz .LBB8_10
; %bb.9:                                ;   in Loop: Header=BB8_4 Depth=1
	s_ashr_i32 s40, s19, 31
	v_dual_mov_b32 v13, v2 :: v_dual_ashrrev_i32 v6, 31, v5
	s_mov_b32 s41, s40
	s_delay_alu instid0(SALU_CYCLE_1) | instskip(NEXT) | instid1(VALU_DEP_1)
	s_add_nc_u64 s[42:43], s[18:19], s[40:41]
	v_mov_b32_e32 v7, v6
	s_xor_b64 s[42:43], s[42:43], s[40:41]
	s_delay_alu instid0(SALU_CYCLE_1)
	s_cvt_f32_u32 s1, s42
	s_cvt_f32_u32 s2, s43
	s_sub_nc_u64 s[54:55], 0, s[42:43]
	v_add_nc_u64_e32 v[8:9], v[4:5], v[6:7]
	v_mov_b32_e32 v17, v2
	s_fmamk_f32 s1, s2, 0x4f800000, s1
	s_delay_alu instid0(SALU_CYCLE_3) | instskip(NEXT) | instid1(VALU_DEP_2)
	v_s_rcp_f32 s1, s1
	v_xor_b32_e32 v12, v8, v6
	s_delay_alu instid0(VALU_DEP_3) | instskip(NEXT) | instid1(TRANS32_DEP_1)
	v_dual_mov_b32 v21, v2 :: v_dual_bitop2_b32 v16, v9, v6 bitop3:0x14
	s_mul_f32 s1, s1, 0x5f7ffffc
	s_delay_alu instid0(SALU_CYCLE_3) | instskip(NEXT) | instid1(SALU_CYCLE_3)
	s_mul_f32 s2, s1, 0x2f800000
	s_trunc_f32 s2, s2
	s_delay_alu instid0(SALU_CYCLE_3) | instskip(SKIP_1) | instid1(SALU_CYCLE_2)
	s_fmamk_f32 s1, s2, 0xcf800000, s1
	s_cvt_u32_f32 s53, s2
	s_cvt_u32_f32 s52, s1
	s_delay_alu instid0(SALU_CYCLE_3) | instskip(NEXT) | instid1(SALU_CYCLE_1)
	s_mul_u64 s[56:57], s[54:55], s[52:53]
	s_mul_hi_u32 s59, s52, s57
	s_mul_i32 s58, s52, s57
	s_mul_hi_u32 s2, s52, s56
	s_mul_i32 s41, s53, s56
	s_add_nc_u64 s[58:59], s[2:3], s[58:59]
	s_mul_hi_u32 s1, s53, s56
	s_mul_hi_u32 s60, s53, s57
	s_add_co_u32 s2, s58, s41
	s_add_co_ci_u32 s2, s59, s1
	s_mul_i32 s56, s53, s57
	s_add_co_ci_u32 s57, s60, 0
	s_delay_alu instid0(SALU_CYCLE_1) | instskip(NEXT) | instid1(SALU_CYCLE_1)
	s_add_nc_u64 s[56:57], s[2:3], s[56:57]
	s_add_co_u32 s52, s52, s56
	s_cselect_b32 s1, -1, 0
	s_delay_alu instid0(SALU_CYCLE_1) | instskip(SKIP_1) | instid1(SALU_CYCLE_1)
	s_cmp_lg_u32 s1, 0
	s_add_co_ci_u32 s53, s53, s57
	s_mul_u64 s[54:55], s[54:55], s[52:53]
	s_delay_alu instid0(SALU_CYCLE_1)
	s_mul_hi_u32 s57, s52, s55
	s_mul_i32 s56, s52, s55
	s_mul_hi_u32 s2, s52, s54
	s_mul_i32 s41, s53, s54
	s_add_nc_u64 s[56:57], s[2:3], s[56:57]
	s_mul_hi_u32 s1, s53, s54
	s_mul_hi_u32 s58, s53, s55
	s_add_co_u32 s2, s56, s41
	s_add_co_ci_u32 s2, s57, s1
	s_mul_i32 s54, s53, s55
	s_add_co_ci_u32 s55, s58, 0
	s_delay_alu instid0(SALU_CYCLE_1) | instskip(NEXT) | instid1(SALU_CYCLE_1)
	s_add_nc_u64 s[54:55], s[2:3], s[54:55]
	s_add_co_u32 s52, s52, s54
	s_cselect_b32 s1, -1, 0
	v_mul_hi_u32 v20, v12, s52
	s_cmp_lg_u32 s1, 0
	s_add_co_ci_u32 s2, s53, s55
	s_and_b64 s[54:55], s[52:53], s[34:35]
	v_mul_u64_e32 v[14:15], s[2:3], v[12:13]
	v_mul_u64_e32 v[8:9], s[54:55], v[16:17]
	;; [unrolled: 1-line block ×3, first 2 shown]
	s_delay_alu instid0(VALU_DEP_3) | instskip(NEXT) | instid1(VALU_DEP_1)
	v_add_nc_u64_e32 v[14:15], v[20:21], v[14:15]
	v_add_co_u32 v3, vcc_lo, v14, v8
	s_delay_alu instid0(VALU_DEP_2) | instskip(NEXT) | instid1(VALU_DEP_4)
	v_add_co_ci_u32_e32 v20, vcc_lo, v15, v9, vcc_lo
	v_add_co_ci_u32_e32 v19, vcc_lo, 0, v19, vcc_lo
	s_delay_alu instid0(VALU_DEP_1) | instskip(NEXT) | instid1(VALU_DEP_1)
	v_add_nc_u64_e32 v[8:9], v[20:21], v[18:19]
	v_mul_u64_e32 v[14:15], s[42:43], v[8:9]
	s_delay_alu instid0(VALU_DEP_1) | instskip(NEXT) | instid1(VALU_DEP_2)
	v_sub_nc_u32_e32 v3, v16, v15
	v_sub_co_u32 v7, vcc_lo, v12, v14
	s_delay_alu instid0(VALU_DEP_1) | instskip(NEXT) | instid1(VALU_DEP_3)
	v_sub_co_ci_u32_e64 v16, null, v16, v15, vcc_lo
	v_subrev_co_ci_u32_e64 v3, null, s43, v3, vcc_lo
	s_delay_alu instid0(VALU_DEP_3) | instskip(SKIP_1) | instid1(VALU_DEP_3)
	v_sub_co_u32 v11, s1, v7, s42
	v_add_nc_u64_e32 v[14:15], 1, v[8:9]
	v_subrev_co_ci_u32_e64 v3, null, 0, v3, s1
	s_delay_alu instid0(VALU_DEP_3) | instskip(SKIP_1) | instid1(VALU_DEP_3)
	v_cmp_le_u32_e32 vcc_lo, s42, v11
	v_cndmask_b32_e64 v11, 0, -1, vcc_lo
	v_cmp_le_u32_e32 vcc_lo, s43, v3
	v_cndmask_b32_e64 v12, 0, -1, vcc_lo
	;; [unrolled: 2-line block ×4, first 2 shown]
	v_cmp_eq_u32_e32 vcc_lo, s43, v3
	v_cndmask_b32_e32 v3, v12, v11, vcc_lo
	v_cmp_eq_u32_e32 vcc_lo, s43, v16
	v_add_nc_u64_e32 v[12:13], 2, v[8:9]
	v_cndmask_b32_e32 v7, v17, v7, vcc_lo
	s_delay_alu instid0(VALU_DEP_4) | instskip(NEXT) | instid1(VALU_DEP_3)
	v_cmp_ne_u32_e32 vcc_lo, 0, v3
	v_cndmask_b32_e32 v3, v15, v13, vcc_lo
	s_delay_alu instid0(VALU_DEP_3) | instskip(SKIP_1) | instid1(VALU_DEP_2)
	v_cmp_ne_u32_e64 s1, 0, v7
	v_dual_cndmask_b32 v7, v14, v12, vcc_lo :: v_dual_bitop2_b32 v6, s40, v6 bitop3:0x14
	v_cndmask_b32_e64 v3, v9, v3, s1
	s_delay_alu instid0(VALU_DEP_2) | instskip(NEXT) | instid1(VALU_DEP_2)
	v_dual_cndmask_b32 v8, v8, v7, s1 :: v_dual_mov_b32 v7, v6
	v_xor_b32_e32 v9, v3, v6
	s_delay_alu instid0(VALU_DEP_2) | instskip(NEXT) | instid1(VALU_DEP_1)
	v_xor_b32_e32 v8, v8, v6
	v_sub_nc_u64_e32 v[6:7], v[8:9], v[6:7]
.LBB8_10:                               ;   in Loop: Header=BB8_4 Depth=1
	s_and_not1_saveexec_b32 s1, s37
	s_cbranch_execz .LBB8_12
; %bb.11:                               ;   in Loop: Header=BB8_4 Depth=1
	v_cvt_f32_u32_e32 v3, s18
	s_sub_co_i32 s2, 0, s18
	s_delay_alu instid0(VALU_DEP_1) | instskip(SKIP_1) | instid1(TRANS32_DEP_1)
	v_rcp_iflag_f32_e32 v3, v3
	v_nop
	v_mul_f32_e32 v3, 0x4f7ffffe, v3
	s_delay_alu instid0(VALU_DEP_1) | instskip(NEXT) | instid1(VALU_DEP_1)
	v_cvt_u32_f32_e32 v3, v3
	v_mul_lo_u32 v6, s2, v3
	s_delay_alu instid0(VALU_DEP_1) | instskip(NEXT) | instid1(VALU_DEP_1)
	v_mul_hi_u32 v6, v3, v6
	v_add_nc_u32_e32 v3, v3, v6
	s_delay_alu instid0(VALU_DEP_1) | instskip(NEXT) | instid1(VALU_DEP_1)
	v_mul_hi_u32 v3, v4, v3
	v_mul_lo_u32 v6, v3, s18
	s_delay_alu instid0(VALU_DEP_1) | instskip(NEXT) | instid1(VALU_DEP_1)
	v_dual_add_nc_u32 v7, 1, v3 :: v_dual_sub_nc_u32 v6, v4, v6
	v_subrev_nc_u32_e32 v8, s18, v6
	v_cmp_le_u32_e32 vcc_lo, s18, v6
	s_delay_alu instid0(VALU_DEP_2) | instskip(NEXT) | instid1(VALU_DEP_1)
	v_dual_cndmask_b32 v6, v6, v8 :: v_dual_cndmask_b32 v3, v3, v7
	v_cmp_le_u32_e32 vcc_lo, s18, v6
	s_delay_alu instid0(VALU_DEP_2) | instskip(NEXT) | instid1(VALU_DEP_1)
	v_add_nc_u32_e32 v7, 1, v3
	v_dual_cndmask_b32 v6, v3, v7 :: v_dual_mov_b32 v7, v2
.LBB8_12:                               ;   in Loop: Header=BB8_4 Depth=1
	s_or_b32 exec_lo, exec_lo, s1
	s_delay_alu instid0(VALU_DEP_1) | instskip(SKIP_1) | instid1(VALU_DEP_1)
	v_or_b32_e32 v3, s17, v7
                                        ; implicit-def: $vgpr8_vgpr9
	s_mov_b32 s1, exec_lo
	v_cmpx_ne_u64_e32 0, v[2:3]
	s_xor_b32 s37, exec_lo, s1
	s_cbranch_execz .LBB8_14
; %bb.13:                               ;   in Loop: Header=BB8_4 Depth=1
	s_ashr_i32 s40, s17, 31
	v_dual_mov_b32 v15, v2 :: v_dual_ashrrev_i32 v8, 31, v7
	s_mov_b32 s41, s40
	v_mov_b32_e32 v19, v2
	s_add_nc_u64 s[42:43], s[16:17], s[40:41]
	s_delay_alu instid0(VALU_DEP_2)
	v_mov_b32_e32 v9, v8
	s_xor_b64 s[42:43], s[42:43], s[40:41]
	v_mov_b32_e32 v23, v2
	s_cvt_f32_u32 s1, s42
	s_cvt_f32_u32 s2, s43
	s_sub_nc_u64 s[54:55], 0, s[42:43]
	v_add_nc_u64_e32 v[12:13], v[6:7], v[8:9]
	s_delay_alu instid0(SALU_CYCLE_1) | instskip(NEXT) | instid1(SALU_CYCLE_3)
	s_fmamk_f32 s1, s2, 0x4f800000, s1
	v_s_rcp_f32 s1, s1
	s_delay_alu instid0(VALU_DEP_1) | instskip(NEXT) | instid1(VALU_DEP_2)
	v_xor_b32_e32 v14, v12, v8
	v_xor_b32_e32 v18, v13, v8
	s_delay_alu instid0(TRANS32_DEP_1) | instskip(NEXT) | instid1(SALU_CYCLE_3)
	s_mul_f32 s1, s1, 0x5f7ffffc
	s_mul_f32 s2, s1, 0x2f800000
	s_delay_alu instid0(SALU_CYCLE_3) | instskip(NEXT) | instid1(SALU_CYCLE_3)
	s_trunc_f32 s2, s2
	s_fmamk_f32 s1, s2, 0xcf800000, s1
	s_cvt_u32_f32 s53, s2
	s_delay_alu instid0(SALU_CYCLE_2) | instskip(NEXT) | instid1(SALU_CYCLE_3)
	s_cvt_u32_f32 s52, s1
	s_mul_u64 s[56:57], s[54:55], s[52:53]
	s_delay_alu instid0(SALU_CYCLE_1)
	s_mul_hi_u32 s59, s52, s57
	s_mul_i32 s58, s52, s57
	s_mul_hi_u32 s2, s52, s56
	s_mul_i32 s41, s53, s56
	s_add_nc_u64 s[58:59], s[2:3], s[58:59]
	s_mul_hi_u32 s1, s53, s56
	s_mul_hi_u32 s60, s53, s57
	s_add_co_u32 s2, s58, s41
	s_add_co_ci_u32 s2, s59, s1
	s_mul_i32 s56, s53, s57
	s_add_co_ci_u32 s57, s60, 0
	s_delay_alu instid0(SALU_CYCLE_1) | instskip(NEXT) | instid1(SALU_CYCLE_1)
	s_add_nc_u64 s[56:57], s[2:3], s[56:57]
	s_add_co_u32 s52, s52, s56
	s_cselect_b32 s1, -1, 0
	s_delay_alu instid0(SALU_CYCLE_1) | instskip(SKIP_1) | instid1(SALU_CYCLE_1)
	s_cmp_lg_u32 s1, 0
	s_add_co_ci_u32 s53, s53, s57
	s_mul_u64 s[54:55], s[54:55], s[52:53]
	s_delay_alu instid0(SALU_CYCLE_1)
	s_mul_hi_u32 s57, s52, s55
	s_mul_i32 s56, s52, s55
	s_mul_hi_u32 s2, s52, s54
	s_mul_i32 s41, s53, s54
	s_add_nc_u64 s[56:57], s[2:3], s[56:57]
	s_mul_hi_u32 s1, s53, s54
	s_mul_hi_u32 s58, s53, s55
	s_add_co_u32 s2, s56, s41
	s_add_co_ci_u32 s2, s57, s1
	s_mul_i32 s54, s53, s55
	s_add_co_ci_u32 s55, s58, 0
	s_delay_alu instid0(SALU_CYCLE_1) | instskip(NEXT) | instid1(SALU_CYCLE_1)
	s_add_nc_u64 s[54:55], s[2:3], s[54:55]
	s_add_co_u32 s52, s52, s54
	s_cselect_b32 s1, -1, 0
	v_mul_hi_u32 v22, v14, s52
	s_cmp_lg_u32 s1, 0
	s_add_co_ci_u32 s2, s53, s55
	s_and_b64 s[54:55], s[52:53], s[34:35]
	v_mul_u64_e32 v[16:17], s[2:3], v[14:15]
	v_mul_u64_e32 v[12:13], s[54:55], v[18:19]
	;; [unrolled: 1-line block ×3, first 2 shown]
	s_delay_alu instid0(VALU_DEP_3) | instskip(NEXT) | instid1(VALU_DEP_1)
	v_add_nc_u64_e32 v[16:17], v[22:23], v[16:17]
	v_add_co_u32 v3, vcc_lo, v16, v12
	s_delay_alu instid0(VALU_DEP_2) | instskip(NEXT) | instid1(VALU_DEP_4)
	v_add_co_ci_u32_e32 v22, vcc_lo, v17, v13, vcc_lo
	v_add_co_ci_u32_e32 v21, vcc_lo, 0, v21, vcc_lo
	s_delay_alu instid0(VALU_DEP_1) | instskip(NEXT) | instid1(VALU_DEP_1)
	v_add_nc_u64_e32 v[12:13], v[22:23], v[20:21]
	v_mul_u64_e32 v[16:17], s[42:43], v[12:13]
	s_delay_alu instid0(VALU_DEP_1) | instskip(NEXT) | instid1(VALU_DEP_2)
	v_sub_nc_u32_e32 v3, v18, v17
	v_sub_co_u32 v7, vcc_lo, v14, v16
	s_delay_alu instid0(VALU_DEP_1) | instskip(NEXT) | instid1(VALU_DEP_3)
	v_sub_co_ci_u32_e64 v11, null, v18, v17, vcc_lo
	v_subrev_co_ci_u32_e64 v3, null, s43, v3, vcc_lo
	s_delay_alu instid0(VALU_DEP_3) | instskip(SKIP_1) | instid1(VALU_DEP_3)
	v_sub_co_u32 v9, s1, v7, s42
	v_add_nc_u64_e32 v[16:17], 1, v[12:13]
	v_subrev_co_ci_u32_e64 v3, null, 0, v3, s1
	s_delay_alu instid0(VALU_DEP_3) | instskip(SKIP_1) | instid1(VALU_DEP_3)
	v_cmp_le_u32_e32 vcc_lo, s42, v9
	v_cndmask_b32_e64 v9, 0, -1, vcc_lo
	v_cmp_le_u32_e32 vcc_lo, s43, v3
	v_cndmask_b32_e64 v14, 0, -1, vcc_lo
	;; [unrolled: 2-line block ×4, first 2 shown]
	v_cmp_eq_u32_e32 vcc_lo, s43, v3
	v_cndmask_b32_e32 v3, v14, v9, vcc_lo
	v_cmp_eq_u32_e32 vcc_lo, s43, v11
	v_add_nc_u64_e32 v[14:15], 2, v[12:13]
	v_cndmask_b32_e32 v7, v18, v7, vcc_lo
	s_delay_alu instid0(VALU_DEP_4) | instskip(NEXT) | instid1(VALU_DEP_2)
	v_cmp_ne_u32_e32 vcc_lo, 0, v3
	v_cmp_ne_u32_e64 s1, 0, v7
	s_delay_alu instid0(VALU_DEP_4) | instskip(NEXT) | instid1(VALU_DEP_1)
	v_dual_cndmask_b32 v3, v17, v15, vcc_lo :: v_dual_cndmask_b32 v7, v16, v14, vcc_lo
	v_dual_cndmask_b32 v3, v13, v3, s1 :: v_dual_bitop2_b32 v8, s40, v8 bitop3:0x14
	s_delay_alu instid0(VALU_DEP_1) | instskip(NEXT) | instid1(VALU_DEP_1)
	v_dual_cndmask_b32 v7, v12, v7, s1 :: v_dual_bitop2_b32 v13, v3, v8 bitop3:0x14
	v_dual_mov_b32 v9, v8 :: v_dual_bitop2_b32 v12, v7, v8 bitop3:0x14
	s_delay_alu instid0(VALU_DEP_1)
	v_sub_nc_u64_e32 v[8:9], v[12:13], v[8:9]
.LBB8_14:                               ;   in Loop: Header=BB8_4 Depth=1
	s_and_not1_saveexec_b32 s1, s37
	s_cbranch_execz .LBB8_16
; %bb.15:                               ;   in Loop: Header=BB8_4 Depth=1
	v_cvt_f32_u32_e32 v3, s16
	s_sub_co_i32 s2, 0, s16
	s_delay_alu instid0(VALU_DEP_1) | instskip(SKIP_1) | instid1(TRANS32_DEP_1)
	v_rcp_iflag_f32_e32 v3, v3
	v_nop
	v_mul_f32_e32 v3, 0x4f7ffffe, v3
	s_delay_alu instid0(VALU_DEP_1) | instskip(NEXT) | instid1(VALU_DEP_1)
	v_cvt_u32_f32_e32 v3, v3
	v_mul_lo_u32 v7, s2, v3
	s_delay_alu instid0(VALU_DEP_1) | instskip(NEXT) | instid1(VALU_DEP_1)
	v_mul_hi_u32 v7, v3, v7
	v_add_nc_u32_e32 v3, v3, v7
	s_delay_alu instid0(VALU_DEP_1) | instskip(NEXT) | instid1(VALU_DEP_1)
	v_mul_hi_u32 v3, v6, v3
	v_mul_lo_u32 v7, v3, s16
	s_delay_alu instid0(VALU_DEP_1) | instskip(NEXT) | instid1(VALU_DEP_1)
	v_sub_nc_u32_e32 v7, v6, v7
	v_subrev_nc_u32_e32 v9, s16, v7
	v_cmp_le_u32_e32 vcc_lo, s16, v7
	s_delay_alu instid0(VALU_DEP_2) | instskip(NEXT) | instid1(VALU_DEP_1)
	v_dual_cndmask_b32 v7, v7, v9 :: v_dual_add_nc_u32 v8, 1, v3
	v_dual_cndmask_b32 v3, v3, v8, vcc_lo :: v_dual_mov_b32 v9, v2
	s_delay_alu instid0(VALU_DEP_2) | instskip(NEXT) | instid1(VALU_DEP_2)
	v_cmp_le_u32_e32 vcc_lo, s16, v7
	v_add_nc_u32_e32 v8, 1, v3
	s_delay_alu instid0(VALU_DEP_1)
	v_cndmask_b32_e32 v8, v3, v8, vcc_lo
.LBB8_16:                               ;   in Loop: Header=BB8_4 Depth=1
	s_or_b32 exec_lo, exec_lo, s1
	s_delay_alu instid0(VALU_DEP_1) | instskip(SKIP_2) | instid1(VALU_DEP_2)
	v_mul_lo_u32 v3, v8, s16
	v_mov_b32_e32 v11, 0
	s_mov_b32 s1, exec_lo
	v_dual_sub_nc_u32 v7, v6, v3 :: v_dual_mov_b32 v3, 0
	s_delay_alu instid0(VALU_DEP_1)
	v_cmpx_le_i32_e64 s6, v7
	s_cbranch_execz .LBB8_18
; %bb.17:                               ;   in Loop: Header=BB8_4 Depth=1
	v_subrev_nc_u32_e32 v12, s6, v7
	v_mov_b32_e32 v13, v2
	s_delay_alu instid0(VALU_DEP_1) | instskip(NEXT) | instid1(VALU_DEP_1)
	v_mul_u64_e32 v[14:15], s[28:29], v[12:13]
	v_mul_lo_u32 v11, v15, s33
	s_delay_alu instid0(VALU_DEP_1) | instskip(NEXT) | instid1(VALU_DEP_1)
	v_sub_nc_u32_e32 v11, v12, v11
	v_subrev_nc_u32_e32 v13, s33, v11
	v_cmp_le_u32_e32 vcc_lo, s33, v11
	s_delay_alu instid0(VALU_DEP_2) | instskip(NEXT) | instid1(VALU_DEP_1)
	v_dual_cndmask_b32 v11, v11, v13 :: v_dual_add_nc_u32 v12, 1, v15
	v_cndmask_b32_e32 v12, v15, v12, vcc_lo
	s_delay_alu instid0(VALU_DEP_2) | instskip(NEXT) | instid1(VALU_DEP_2)
	v_cmp_le_u32_e32 vcc_lo, s33, v11
	v_add_nc_u32_e32 v13, 1, v12
	s_delay_alu instid0(VALU_DEP_1) | instskip(NEXT) | instid1(VALU_DEP_1)
	v_cndmask_b32_e32 v11, v12, v13, vcc_lo
	v_xor_b32_e32 v11, s47, v11
	s_delay_alu instid0(VALU_DEP_1) | instskip(NEXT) | instid1(VALU_DEP_1)
	v_subrev_nc_u32_e32 v11, s47, v11
	v_add_nc_u32_e32 v11, 1, v11
.LBB8_18:                               ;   in Loop: Header=BB8_4 Depth=1
	s_or_b32 exec_lo, exec_lo, s1
	v_mul_lo_u32 v6, v6, s18
	s_mov_b32 s1, exec_lo
	s_delay_alu instid0(VALU_DEP_1) | instskip(NEXT) | instid1(VALU_DEP_1)
	v_sub_nc_u32_e32 v13, v4, v6
	v_cmpx_le_i32_e64 s7, v13
	s_cbranch_execz .LBB8_20
; %bb.19:                               ;   in Loop: Header=BB8_4 Depth=1
	v_subrev_nc_u32_e32 v14, s7, v13
	v_mov_b32_e32 v15, v2
	s_delay_alu instid0(VALU_DEP_1) | instskip(NEXT) | instid1(VALU_DEP_1)
	v_mul_u64_e32 v[16:17], s[30:31], v[14:15]
	v_mul_lo_u32 v3, v17, s44
	s_delay_alu instid0(VALU_DEP_1) | instskip(NEXT) | instid1(VALU_DEP_1)
	v_dual_add_nc_u32 v6, 1, v17 :: v_dual_sub_nc_u32 v3, v14, v3
	v_cmp_le_u32_e32 vcc_lo, s44, v3
	s_delay_alu instid0(VALU_DEP_2) | instskip(SKIP_1) | instid1(VALU_DEP_1)
	v_cndmask_b32_e32 v6, v17, v6, vcc_lo
	v_subrev_nc_u32_e32 v12, s44, v3
	v_dual_cndmask_b32 v3, v3, v12 :: v_dual_add_nc_u32 v12, 1, v6
	s_delay_alu instid0(VALU_DEP_1) | instskip(NEXT) | instid1(VALU_DEP_2)
	v_cmp_le_u32_e32 vcc_lo, s44, v3
	v_cndmask_b32_e32 v3, v6, v12, vcc_lo
	s_delay_alu instid0(VALU_DEP_1) | instskip(NEXT) | instid1(VALU_DEP_1)
	v_xor_b32_e32 v3, s48, v3
	v_subrev_nc_u32_e32 v3, s48, v3
	s_delay_alu instid0(VALU_DEP_1)
	v_add_nc_u32_e32 v3, 1, v3
.LBB8_20:                               ;   in Loop: Header=BB8_4 Depth=1
	s_or_b32 exec_lo, exec_lo, s1
	v_dual_mov_b32 v15, v2 :: v_dual_sub_nc_u32 v6, 0, v7
	s_mov_b32 s37, exec_lo
	s_delay_alu instid0(VALU_DEP_1) | instskip(NEXT) | instid1(VALU_DEP_1)
	v_max_i32_e32 v14, v7, v6
	v_mul_u64_e32 v[16:17], s[28:29], v[14:15]
	s_delay_alu instid0(VALU_DEP_1) | instskip(NEXT) | instid1(VALU_DEP_1)
	v_mul_lo_u32 v6, v17, s33
	v_dual_add_nc_u32 v12, 1, v17 :: v_dual_sub_nc_u32 v6, v14, v6
	s_delay_alu instid0(VALU_DEP_1) | instskip(NEXT) | instid1(VALU_DEP_2)
	v_cmp_le_u32_e32 vcc_lo, s33, v6
	v_cndmask_b32_e32 v12, v17, v12, vcc_lo
	v_subrev_nc_u32_e32 v14, s33, v6
	s_delay_alu instid0(VALU_DEP_1) | instskip(NEXT) | instid1(VALU_DEP_1)
	v_dual_cndmask_b32 v6, v6, v14 :: v_dual_ashrrev_i32 v7, 31, v7
	v_dual_add_nc_u32 v14, 1, v12 :: v_dual_bitop2_b32 v7, s47, v7 bitop3:0x14
	s_delay_alu instid0(VALU_DEP_2) | instskip(NEXT) | instid1(VALU_DEP_2)
	v_cmp_le_u32_e32 vcc_lo, s33, v6
	v_cndmask_b32_e32 v6, v12, v14, vcc_lo
	s_delay_alu instid0(VALU_DEP_1) | instskip(NEXT) | instid1(VALU_DEP_1)
	v_xor_b32_e32 v6, v6, v7
	v_sub_nc_u32_e32 v6, v6, v7
	s_delay_alu instid0(VALU_DEP_1) | instskip(SKIP_1) | instid1(VALU_DEP_2)
	v_add_min_i32_e64 v12, v6, 1, s4
	v_mov_b64_e32 v[6:7], 0
	v_cmpx_lt_i32_e64 v11, v12
	s_cbranch_execz .LBB8_3
; %bb.21:                               ;   in Loop: Header=BB8_4 Depth=1
	v_dual_mov_b32 v7, v2 :: v_dual_sub_nc_u32 v6, 0, v13
	v_mul_u64_e32 v[4:5], s[14:15], v[4:5]
	v_mul_u64_e32 v[16:17], s[38:39], v[8:9]
	s_mov_b32 s40, 0
	s_delay_alu instid0(VALU_DEP_3) | instskip(NEXT) | instid1(VALU_DEP_1)
	v_max_i32_e32 v6, v13, v6
	v_mul_u64_e32 v[14:15], s[30:31], v[6:7]
	s_delay_alu instid0(VALU_DEP_4) | instskip(NEXT) | instid1(VALU_DEP_4)
	v_sub_nc_u64_e32 v[4:5], v[0:1], v[4:5]
	v_lshl_add_u64 v[16:17], v[16:17], 3, s[12:13]
	s_delay_alu instid0(VALU_DEP_1) | instskip(NEXT) | instid1(VALU_DEP_4)
	v_lshl_add_u64 v[4:5], v[4:5], 3, v[16:17]
	v_mul_lo_u32 v7, v15, s44
	s_delay_alu instid0(VALU_DEP_1) | instskip(SKIP_1) | instid1(VALU_DEP_2)
	v_sub_nc_u32_e32 v6, v6, v7
	v_add_nc_u32_e32 v7, 1, v15
	v_cmp_le_u32_e32 vcc_lo, s44, v6
	s_delay_alu instid0(VALU_DEP_2) | instskip(SKIP_3) | instid1(VALU_DEP_3)
	v_cndmask_b32_e32 v7, v15, v7, vcc_lo
	v_subrev_nc_u32_e32 v8, s44, v6
	v_ashrrev_i32_e32 v9, 31, v13
	v_mul_lo_u32 v15, s9, v3
	v_dual_cndmask_b32 v6, v6, v8, vcc_lo :: v_dual_add_nc_u32 v8, 1, v7
	s_delay_alu instid0(VALU_DEP_3) | instskip(NEXT) | instid1(VALU_DEP_2)
	v_xor_b32_e32 v9, s48, v9
	v_cmp_le_u32_e32 vcc_lo, s44, v6
	s_delay_alu instid0(VALU_DEP_4) | instskip(NEXT) | instid1(VALU_DEP_4)
	v_dual_add_nc_u32 v13, s49, v15 :: v_dual_add_nc_u32 v14, s50, v15
	v_cndmask_b32_e32 v6, v7, v8, vcc_lo
	v_mul_lo_u32 v8, s5, v11
	s_delay_alu instid0(VALU_DEP_2) | instskip(NEXT) | instid1(VALU_DEP_1)
	v_dual_sub_nc_u32 v15, s11, v15 :: v_dual_bitop2_b32 v6, v6, v9 bitop3:0x14
	v_sub_nc_u32_e32 v6, v6, v9
	s_delay_alu instid0(VALU_DEP_1) | instskip(SKIP_1) | instid1(VALU_DEP_2)
	v_add_min_i32_e64 v9, v6, 1, s5
	v_mov_b64_e32 v[6:7], 0
	v_cmp_lt_i32_e64 s1, v3, v9
	s_branch .LBB8_24
.LBB8_22:                               ;   in Loop: Header=BB8_24 Depth=2
	s_or_b32 exec_lo, exec_lo, s42
.LBB8_23:                               ;   in Loop: Header=BB8_24 Depth=2
	s_delay_alu instid0(SALU_CYCLE_1) | instskip(SKIP_1) | instid1(VALU_DEP_1)
	s_or_b32 exec_lo, exec_lo, s41
	v_dual_add_nc_u32 v11, 1, v11 :: v_dual_add_nc_u32 v8, s5, v8
	v_cmp_ge_i32_e32 vcc_lo, v11, v12
	s_or_b32 s40, vcc_lo, s40
	s_delay_alu instid0(SALU_CYCLE_1)
	s_and_not1_b32 exec_lo, exec_lo, s40
	s_cbranch_execz .LBB8_2
.LBB8_24:                               ;   Parent Loop BB8_4 Depth=1
                                        ; =>  This Loop Header: Depth=2
                                        ;       Child Loop BB8_27 Depth 3
	s_delay_alu instid0(VALU_DEP_1)
	s_and_saveexec_b32 s41, s1
	s_cbranch_execz .LBB8_23
; %bb.25:                               ;   in Loop: Header=BB8_24 Depth=2
	v_mul_lo_u32 v16, v11, s8
	s_mov_b32 s42, 0
	v_mov_b32_e32 v17, v14
	s_delay_alu instid0(VALU_DEP_2) | instskip(NEXT) | instid1(VALU_DEP_1)
	v_subrev_nc_u32_e32 v19, s10, v16
	v_dual_mov_b32 v16, v15 :: v_dual_max_i32 v21, 0, v19
	v_add_min_i32_e64 v20, v19, s6, s45
	s_delay_alu instid0(VALU_DEP_1) | instskip(SKIP_1) | instid1(VALU_DEP_1)
	v_dual_mov_b32 v18, v13 :: v_dual_sub_nc_u32 v19, v20, v19
	v_min_i32_e32 v22, s16, v20
	v_cmp_gt_i32_e64 s2, v22, v21
	v_dual_mov_b32 v21, v3 :: v_dual_sub_nc_u32 v20, v22, v21
	s_branch .LBB8_27
.LBB8_26:                               ;   in Loop: Header=BB8_27 Depth=3
	s_wait_xcnt 0x0
	s_or_b32 exec_lo, exec_lo, s43
	v_dual_add_nc_u32 v21, 1, v21 :: v_dual_add_nc_u32 v18, s9, v18
	v_add_nc_u32_e32 v17, s9, v17
	v_subrev_nc_u32_e32 v16, s9, v16
	s_delay_alu instid0(VALU_DEP_3) | instskip(SKIP_1) | instid1(SALU_CYCLE_1)
	v_cmp_ge_i32_e32 vcc_lo, v21, v9
	s_or_b32 s42, vcc_lo, s42
	s_and_not1_b32 exec_lo, exec_lo, s42
	s_cbranch_execz .LBB8_22
.LBB8_27:                               ;   Parent Loop BB8_4 Depth=1
                                        ;     Parent Loop BB8_24 Depth=2
                                        ; =>    This Inner Loop Header: Depth=3
	v_dual_add_nc_u32 v23, s7, v18 :: v_dual_max_i32 v22, 0, v18
	s_delay_alu instid0(VALU_DEP_1) | instskip(NEXT) | instid1(VALU_DEP_1)
	v_min3_i32 v23, v23, s46, s18
	v_cmp_gt_i32_e32 vcc_lo, v23, v22
	s_and_b32 s52, s2, vcc_lo
	s_delay_alu instid0(SALU_CYCLE_1)
	s_and_saveexec_b32 s43, s52
	s_cbranch_execz .LBB8_26
; %bb.28:                               ;   in Loop: Header=BB8_27 Depth=3
	v_dual_add_nc_u32 v24, v8, v21 :: v_dual_sub_nc_u32 v22, v23, v22
	s_delay_alu instid0(VALU_DEP_1) | instskip(NEXT) | instid1(VALU_DEP_2)
	v_dual_ashrrev_i32 v25, 31, v24 :: v_dual_min_i32 v26, s46, v17
	v_mul_lo_u32 v22, v22, v20
	s_delay_alu instid0(VALU_DEP_2) | instskip(NEXT) | instid1(VALU_DEP_3)
	v_add_nc_u32_e32 v23, v26, v16
	v_mul_u64_e32 v[24:25], s[14:15], v[24:25]
	s_delay_alu instid0(VALU_DEP_2) | instskip(NEXT) | instid1(VALU_DEP_1)
	v_mul_lo_u32 v23, v23, v19
	v_cndmask_b32_e64 v22, v22, v23, s0
	s_delay_alu instid0(VALU_DEP_1) | instskip(NEXT) | instid1(VALU_DEP_1)
	v_cndmask_b32_e64 v22, v22, s22, s23
	v_cvt_f64_i32_e32 v[22:23], v22
	v_lshl_add_u64 v[24:25], v[24:25], 3, v[4:5]
	global_load_b64 v[24:25], v[24:25], off
	s_wait_loadcnt 0x0
	v_div_scale_f64 v[26:27], null, v[22:23], v[22:23], v[24:25]
	s_delay_alu instid0(VALU_DEP_1) | instskip(SKIP_1) | instid1(TRANS32_DEP_1)
	v_rcp_f64_e32 v[28:29], v[26:27]
	v_nop
	v_fma_f64 v[30:31], -v[26:27], v[28:29], 1.0
	s_delay_alu instid0(VALU_DEP_1) | instskip(NEXT) | instid1(VALU_DEP_1)
	v_fmac_f64_e32 v[28:29], v[28:29], v[30:31]
	v_fma_f64 v[30:31], -v[26:27], v[28:29], 1.0
	s_delay_alu instid0(VALU_DEP_1) | instskip(SKIP_1) | instid1(VALU_DEP_1)
	v_fmac_f64_e32 v[28:29], v[28:29], v[30:31]
	v_div_scale_f64 v[30:31], vcc_lo, v[24:25], v[22:23], v[24:25]
	v_mul_f64_e32 v[32:33], v[30:31], v[28:29]
	s_delay_alu instid0(VALU_DEP_1) | instskip(NEXT) | instid1(VALU_DEP_1)
	v_fma_f64 v[26:27], -v[26:27], v[32:33], v[30:31]
	v_div_fmas_f64 v[26:27], v[26:27], v[28:29], v[32:33]
	s_delay_alu instid0(VALU_DEP_1) | instskip(NEXT) | instid1(VALU_DEP_1)
	v_div_fixup_f64 v[22:23], v[26:27], v[22:23], v[24:25]
	v_add_f64_e32 v[6:7], v[6:7], v[22:23]
	s_branch .LBB8_26
.LBB8_29:
	s_endpgm
	.section	.rodata,"a",@progbits
	.p2align	6, 0x0
	.amdhsa_kernel _ZN2at6native12_GLOBAL__N_139avg_pool2d_backward_out_cuda_frame_nhwcIddiEEvT1_PKT_llliiiiiiiiPS4_ibb
		.amdhsa_group_segment_fixed_size 0
		.amdhsa_private_segment_fixed_size 0
		.amdhsa_kernarg_size 344
		.amdhsa_user_sgpr_count 2
		.amdhsa_user_sgpr_dispatch_ptr 0
		.amdhsa_user_sgpr_queue_ptr 0
		.amdhsa_user_sgpr_kernarg_segment_ptr 1
		.amdhsa_user_sgpr_dispatch_id 0
		.amdhsa_user_sgpr_kernarg_preload_length 0
		.amdhsa_user_sgpr_kernarg_preload_offset 0
		.amdhsa_user_sgpr_private_segment_size 0
		.amdhsa_wavefront_size32 1
		.amdhsa_uses_dynamic_stack 0
		.amdhsa_enable_private_segment 0
		.amdhsa_system_sgpr_workgroup_id_x 1
		.amdhsa_system_sgpr_workgroup_id_y 0
		.amdhsa_system_sgpr_workgroup_id_z 0
		.amdhsa_system_sgpr_workgroup_info 0
		.amdhsa_system_vgpr_workitem_id 0
		.amdhsa_next_free_vgpr 34
		.amdhsa_next_free_sgpr 61
		.amdhsa_named_barrier_count 0
		.amdhsa_reserve_vcc 1
		.amdhsa_float_round_mode_32 0
		.amdhsa_float_round_mode_16_64 0
		.amdhsa_float_denorm_mode_32 3
		.amdhsa_float_denorm_mode_16_64 3
		.amdhsa_fp16_overflow 0
		.amdhsa_memory_ordered 1
		.amdhsa_forward_progress 1
		.amdhsa_inst_pref_size 29
		.amdhsa_round_robin_scheduling 0
		.amdhsa_exception_fp_ieee_invalid_op 0
		.amdhsa_exception_fp_denorm_src 0
		.amdhsa_exception_fp_ieee_div_zero 0
		.amdhsa_exception_fp_ieee_overflow 0
		.amdhsa_exception_fp_ieee_underflow 0
		.amdhsa_exception_fp_ieee_inexact 0
		.amdhsa_exception_int_div_zero 0
	.end_amdhsa_kernel
	.section	.text._ZN2at6native12_GLOBAL__N_139avg_pool2d_backward_out_cuda_frame_nhwcIddiEEvT1_PKT_llliiiiiiiiPS4_ibb,"axG",@progbits,_ZN2at6native12_GLOBAL__N_139avg_pool2d_backward_out_cuda_frame_nhwcIddiEEvT1_PKT_llliiiiiiiiPS4_ibb,comdat
.Lfunc_end8:
	.size	_ZN2at6native12_GLOBAL__N_139avg_pool2d_backward_out_cuda_frame_nhwcIddiEEvT1_PKT_llliiiiiiiiPS4_ibb, .Lfunc_end8-_ZN2at6native12_GLOBAL__N_139avg_pool2d_backward_out_cuda_frame_nhwcIddiEEvT1_PKT_llliiiiiiiiPS4_ibb
                                        ; -- End function
	.set _ZN2at6native12_GLOBAL__N_139avg_pool2d_backward_out_cuda_frame_nhwcIddiEEvT1_PKT_llliiiiiiiiPS4_ibb.num_vgpr, 34
	.set _ZN2at6native12_GLOBAL__N_139avg_pool2d_backward_out_cuda_frame_nhwcIddiEEvT1_PKT_llliiiiiiiiPS4_ibb.num_agpr, 0
	.set _ZN2at6native12_GLOBAL__N_139avg_pool2d_backward_out_cuda_frame_nhwcIddiEEvT1_PKT_llliiiiiiiiPS4_ibb.numbered_sgpr, 61
	.set _ZN2at6native12_GLOBAL__N_139avg_pool2d_backward_out_cuda_frame_nhwcIddiEEvT1_PKT_llliiiiiiiiPS4_ibb.num_named_barrier, 0
	.set _ZN2at6native12_GLOBAL__N_139avg_pool2d_backward_out_cuda_frame_nhwcIddiEEvT1_PKT_llliiiiiiiiPS4_ibb.private_seg_size, 0
	.set _ZN2at6native12_GLOBAL__N_139avg_pool2d_backward_out_cuda_frame_nhwcIddiEEvT1_PKT_llliiiiiiiiPS4_ibb.uses_vcc, 1
	.set _ZN2at6native12_GLOBAL__N_139avg_pool2d_backward_out_cuda_frame_nhwcIddiEEvT1_PKT_llliiiiiiiiPS4_ibb.uses_flat_scratch, 0
	.set _ZN2at6native12_GLOBAL__N_139avg_pool2d_backward_out_cuda_frame_nhwcIddiEEvT1_PKT_llliiiiiiiiPS4_ibb.has_dyn_sized_stack, 0
	.set _ZN2at6native12_GLOBAL__N_139avg_pool2d_backward_out_cuda_frame_nhwcIddiEEvT1_PKT_llliiiiiiiiPS4_ibb.has_recursion, 0
	.set _ZN2at6native12_GLOBAL__N_139avg_pool2d_backward_out_cuda_frame_nhwcIddiEEvT1_PKT_llliiiiiiiiPS4_ibb.has_indirect_call, 0
	.section	.AMDGPU.csdata,"",@progbits
; Kernel info:
; codeLenInByte = 3684
; TotalNumSgprs: 63
; NumVgprs: 34
; ScratchSize: 0
; MemoryBound: 0
; FloatMode: 240
; IeeeMode: 1
; LDSByteSize: 0 bytes/workgroup (compile time only)
; SGPRBlocks: 0
; VGPRBlocks: 2
; NumSGPRsForWavesPerEU: 63
; NumVGPRsForWavesPerEU: 34
; NamedBarCnt: 0
; Occupancy: 16
; WaveLimiterHint : 0
; COMPUTE_PGM_RSRC2:SCRATCH_EN: 0
; COMPUTE_PGM_RSRC2:USER_SGPR: 2
; COMPUTE_PGM_RSRC2:TRAP_HANDLER: 0
; COMPUTE_PGM_RSRC2:TGID_X_EN: 1
; COMPUTE_PGM_RSRC2:TGID_Y_EN: 0
; COMPUTE_PGM_RSRC2:TGID_Z_EN: 0
; COMPUTE_PGM_RSRC2:TIDIG_COMP_CNT: 0
	.section	.text._ZN2at6native12_GLOBAL__N_134avg_pool2d_backward_out_cuda_frameIddiEEvT1_PKT_llllliiiiiiPS4_ibb,"axG",@progbits,_ZN2at6native12_GLOBAL__N_134avg_pool2d_backward_out_cuda_frameIddiEEvT1_PKT_llllliiiiiiPS4_ibb,comdat
	.globl	_ZN2at6native12_GLOBAL__N_134avg_pool2d_backward_out_cuda_frameIddiEEvT1_PKT_llllliiiiiiPS4_ibb ; -- Begin function _ZN2at6native12_GLOBAL__N_134avg_pool2d_backward_out_cuda_frameIddiEEvT1_PKT_llllliiiiiiPS4_ibb
	.p2align	8
	.type	_ZN2at6native12_GLOBAL__N_134avg_pool2d_backward_out_cuda_frameIddiEEvT1_PKT_llllliiiiiiPS4_ibb,@function
_ZN2at6native12_GLOBAL__N_134avg_pool2d_backward_out_cuda_frameIddiEEvT1_PKT_llllliiiiiiPS4_ibb: ; @_ZN2at6native12_GLOBAL__N_134avg_pool2d_backward_out_cuda_frameIddiEEvT1_PKT_llllliiiiiiPS4_ibb
; %bb.0:
	s_clause 0x1
	s_load_b32 s20, s[0:1], 0x0
	s_load_b32 s2, s[0:1], 0x6c
	s_bfe_u32 s3, ttmp6, 0x4000c
	v_mov_b32_e32 v2, 0
	s_add_co_i32 s3, s3, 1
	s_and_b32 s4, ttmp6, 15
	s_mul_i32 s3, ttmp9, s3
	s_getreg_b32 s5, hwreg(HW_REG_IB_STS2, 6, 4)
	v_mov_b32_e32 v1, v2
	s_add_co_i32 s4, s4, s3
	s_mov_b32 s23, 0
	s_wait_kmcnt 0x0
	s_ashr_i32 s21, s20, 31
	s_and_b32 s22, s2, 0xffff
	s_cmp_eq_u32 s5, 0
	s_cselect_b32 s2, ttmp9, s4
	s_delay_alu instid0(SALU_CYCLE_1) | instskip(SKIP_1) | instid1(VALU_DEP_1)
	v_mad_nc_u64_u32 v[0:1], s22, s2, v[0:1]
	s_mov_b32 s2, exec_lo
	v_cmpx_gt_i64_e64 s[20:21], v[0:1]
	s_cbranch_execz .LBB9_25
; %bb.1:
	s_clause 0x3
	s_load_b64 s[24:25], s[0:1], 0x58
	s_load_b256 s[4:11], s[0:1], 0x18
	s_load_b32 s26, s[0:1], 0x5c
	s_load_b256 s[12:19], s[0:1], 0x38
	s_add_nc_u64 s[2:3], s[0:1], 0x60
	s_mov_b32 s31, s23
	s_load_b32 s28, s[2:3], 0x0
	s_mov_b32 s35, s23
	s_mov_b64 s[40:41], 0xffffffff
	s_mov_b32 s53, 0
	s_wait_kmcnt 0x0
	s_bitcmp1_b32 s25, 0
	v_cvt_f32_u32_e32 v3, s6
	s_cselect_b32 s2, -1, 0
	s_bitcmp1_b32 s26, 8
	s_cselect_b32 s3, -1, 0
	s_delay_alu instid0(VALU_DEP_1)
	v_rcp_iflag_f32_e32 v3, v3
	s_abs_i32 s25, s14
	s_abs_i32 s33, s15
	s_cvt_f32_u32 s26, s25
	s_cvt_f32_u32 s29, s33
	s_mul_i32 s28, s28, s22
	s_sub_co_i32 s22, 0, s6
	v_nop
	v_mul_f32_e32 v3, 0x4f7ffffe, v3
	v_rcp_iflag_f32_e32 v4, s26
	s_load_b64 s[26:27], s[0:1], 0x8
	v_rcp_iflag_f32_e32 v5, s29
	s_sub_co_i32 s30, 0, s33
	v_cvt_u32_f32_e32 v3, v3
	s_mov_b32 s29, s23
	s_add_co_i32 s48, s16, s4
	s_wait_xcnt 0x0
	v_readfirstlane_b32 s0, v4
	s_add_co_i32 s49, s17, s6
	v_mul_lo_u32 v4, s22, v3
	v_readfirstlane_b32 s1, v5
	s_sub_co_i32 s22, 0, s25
	s_mul_f32 s0, s0, 0x4f7ffffe
	s_ashr_i32 s50, s14, 31
	s_ashr_i32 s51, s15, 31
	s_mul_f32 s1, s1, 0x4f7ffffe
	s_cvt_u32_f32 s0, s0
	s_lshl_b64 s[36:37], s[8:9], 3
	s_lshl_b64 s[38:39], s[10:11], 3
	s_cvt_u32_f32 s1, s1
	v_mul_hi_u32 v4, v3, v4
	s_mul_i32 s22, s22, s0
	s_sub_co_i32 s9, 0, s17
	s_mul_i32 s34, s30, s1
	s_mul_hi_u32 s22, s0, s22
	s_sub_co_i32 s52, s13, s17
	s_add_co_i32 s30, s0, s22
	s_mul_hi_u32 s0, s1, s34
	s_ashr_i32 s42, s7, 31
	s_add_co_i32 s34, s1, s0
	s_ashr_i32 s44, s5, 31
	v_add_nc_u32_e32 v14, v3, v4
	s_branch .LBB9_4
.LBB9_2:                                ;   in Loop: Header=BB9_4 Depth=1
	s_or_b32 exec_lo, exec_lo, s43
.LBB9_3:                                ;   in Loop: Header=BB9_4 Depth=1
	s_delay_alu instid0(SALU_CYCLE_1)
	s_or_b32 exec_lo, exec_lo, s22
	v_lshl_add_u64 v[6:7], v[0:1], 3, s[18:19]
	v_add_nc_u64_e32 v[0:1], s[28:29], v[0:1]
	global_store_b64 v[6:7], v[4:5], off
	v_cmp_le_i64_e32 vcc_lo, s[20:21], v[0:1]
	s_or_b32 s53, vcc_lo, s53
	s_wait_xcnt 0x0
	s_and_not1_b32 exec_lo, exec_lo, s53
	s_cbranch_execz .LBB9_25
.LBB9_4:                                ; =>This Loop Header: Depth=1
                                        ;     Child Loop BB9_20 Depth 2
                                        ;       Child Loop BB9_23 Depth 3
	v_or_b32_e32 v3, s7, v1
                                        ; implicit-def: $vgpr4_vgpr5
	s_mov_b32 s0, exec_lo
	s_delay_alu instid0(VALU_DEP_1)
	v_cmpx_ne_u64_e32 0, v[2:3]
	s_xor_b32 s1, exec_lo, s0
	s_cbranch_execz .LBB9_6
; %bb.5:                                ;   in Loop: Header=BB9_4 Depth=1
	s_mov_b32 s43, s42
	v_dual_mov_b32 v9, v2 :: v_dual_ashrrev_i32 v4, 31, v1
	s_add_nc_u64 s[46:47], s[6:7], s[42:43]
	s_delay_alu instid0(SALU_CYCLE_1) | instskip(NEXT) | instid1(VALU_DEP_1)
	s_xor_b64 s[46:47], s[46:47], s[42:43]
	v_mov_b32_e32 v5, v4
	s_cvt_f32_u32 s0, s46
	s_cvt_f32_u32 s22, s47
	s_sub_nc_u64 s[56:57], 0, s[46:47]
	s_delay_alu instid0(VALU_DEP_1) | instskip(NEXT) | instid1(SALU_CYCLE_1)
	v_add_nc_u64_e32 v[6:7], v[0:1], v[4:5]
	s_fmamk_f32 s0, s22, 0x4f800000, s0
	v_mov_b32_e32 v13, v2
	s_delay_alu instid0(SALU_CYCLE_2) | instskip(NEXT) | instid1(VALU_DEP_2)
	v_s_rcp_f32 s0, s0
	v_xor_b32_e32 v8, v6, v4
	s_delay_alu instid0(VALU_DEP_3) | instskip(SKIP_1) | instid1(TRANS32_DEP_1)
	v_dual_mov_b32 v19, v2 :: v_dual_bitop2_b32 v12, v7, v4 bitop3:0x14
	v_xor_b32_e32 v4, s42, v4
	s_mul_f32 s0, s0, 0x5f7ffffc
	s_delay_alu instid0(SALU_CYCLE_3) | instskip(NEXT) | instid1(SALU_CYCLE_3)
	s_mul_f32 s22, s0, 0x2f800000
	s_trunc_f32 s22, s22
	s_delay_alu instid0(SALU_CYCLE_3) | instskip(SKIP_1) | instid1(SALU_CYCLE_2)
	s_fmamk_f32 s0, s22, 0xcf800000, s0
	s_cvt_u32_f32 s55, s22
	s_cvt_u32_f32 s54, s0
	s_delay_alu instid0(SALU_CYCLE_3) | instskip(NEXT) | instid1(SALU_CYCLE_1)
	s_mul_u64 s[58:59], s[56:57], s[54:55]
	s_mul_hi_u32 s61, s54, s59
	s_mul_i32 s60, s54, s59
	s_mul_hi_u32 s22, s54, s58
	s_mul_i32 s43, s55, s58
	s_add_nc_u64 s[60:61], s[22:23], s[60:61]
	s_mul_hi_u32 s0, s55, s58
	s_mul_hi_u32 s45, s55, s59
	s_add_co_u32 s22, s60, s43
	s_add_co_ci_u32 s22, s61, s0
	s_mul_i32 s58, s55, s59
	s_add_co_ci_u32 s59, s45, 0
	s_delay_alu instid0(SALU_CYCLE_1) | instskip(NEXT) | instid1(SALU_CYCLE_1)
	s_add_nc_u64 s[58:59], s[22:23], s[58:59]
	s_add_co_u32 s54, s54, s58
	s_cselect_b32 s0, -1, 0
	s_delay_alu instid0(SALU_CYCLE_1) | instskip(SKIP_1) | instid1(SALU_CYCLE_1)
	s_cmp_lg_u32 s0, 0
	s_add_co_ci_u32 s55, s55, s59
	s_mul_u64 s[56:57], s[56:57], s[54:55]
	s_delay_alu instid0(SALU_CYCLE_1)
	s_mul_hi_u32 s59, s54, s57
	s_mul_i32 s58, s54, s57
	s_mul_hi_u32 s22, s54, s56
	s_mul_i32 s43, s55, s56
	s_add_nc_u64 s[58:59], s[22:23], s[58:59]
	s_mul_hi_u32 s0, s55, s56
	s_mul_hi_u32 s45, s55, s57
	s_add_co_u32 s22, s58, s43
	s_add_co_ci_u32 s22, s59, s0
	s_mul_i32 s56, s55, s57
	s_add_co_ci_u32 s57, s45, 0
	s_delay_alu instid0(SALU_CYCLE_1) | instskip(NEXT) | instid1(SALU_CYCLE_1)
	s_add_nc_u64 s[56:57], s[22:23], s[56:57]
	s_add_co_u32 s0, s54, s56
	s_cselect_b32 s22, -1, 0
	v_mul_hi_u32 v18, v8, s0
	s_cmp_lg_u32 s22, 0
	s_add_co_ci_u32 s22, s55, s57
	s_and_b64 s[54:55], s[0:1], s[40:41]
	v_mul_u64_e32 v[10:11], s[22:23], v[8:9]
	v_mul_u64_e32 v[6:7], s[54:55], v[12:13]
	;; [unrolled: 1-line block ×3, first 2 shown]
	s_delay_alu instid0(VALU_DEP_3) | instskip(NEXT) | instid1(VALU_DEP_1)
	v_add_nc_u64_e32 v[10:11], v[18:19], v[10:11]
	v_add_co_u32 v3, vcc_lo, v10, v6
	s_delay_alu instid0(VALU_DEP_2) | instskip(NEXT) | instid1(VALU_DEP_4)
	v_add_co_ci_u32_e32 v18, vcc_lo, v11, v7, vcc_lo
	v_add_co_ci_u32_e32 v17, vcc_lo, 0, v17, vcc_lo
	s_delay_alu instid0(VALU_DEP_1) | instskip(NEXT) | instid1(VALU_DEP_1)
	v_add_nc_u64_e32 v[6:7], v[18:19], v[16:17]
	v_mul_u64_e32 v[10:11], s[46:47], v[6:7]
	s_delay_alu instid0(VALU_DEP_1) | instskip(NEXT) | instid1(VALU_DEP_2)
	v_sub_nc_u32_e32 v3, v12, v11
	v_sub_co_u32 v5, vcc_lo, v8, v10
	s_delay_alu instid0(VALU_DEP_1) | instskip(NEXT) | instid1(VALU_DEP_3)
	v_sub_co_ci_u32_e64 v12, null, v12, v11, vcc_lo
	v_subrev_co_ci_u32_e64 v3, null, s47, v3, vcc_lo
	s_delay_alu instid0(VALU_DEP_3) | instskip(SKIP_1) | instid1(VALU_DEP_3)
	v_sub_co_u32 v8, s0, v5, s46
	v_add_nc_u64_e32 v[10:11], 1, v[6:7]
	v_subrev_co_ci_u32_e64 v3, null, 0, v3, s0
	s_delay_alu instid0(VALU_DEP_3) | instskip(SKIP_1) | instid1(VALU_DEP_3)
	v_cmp_le_u32_e32 vcc_lo, s46, v8
	v_cndmask_b32_e64 v8, 0, -1, vcc_lo
	v_cmp_le_u32_e32 vcc_lo, s47, v3
	v_cndmask_b32_e64 v9, 0, -1, vcc_lo
	;; [unrolled: 2-line block ×4, first 2 shown]
	v_cmp_eq_u32_e32 vcc_lo, s47, v3
	v_cndmask_b32_e32 v3, v9, v8, vcc_lo
	v_cmp_eq_u32_e32 vcc_lo, s47, v12
	v_add_nc_u64_e32 v[8:9], 2, v[6:7]
	v_cndmask_b32_e32 v5, v13, v5, vcc_lo
	s_delay_alu instid0(VALU_DEP_4) | instskip(NEXT) | instid1(VALU_DEP_2)
	v_cmp_ne_u32_e32 vcc_lo, 0, v3
	v_cmp_ne_u32_e64 s0, 0, v5
	s_delay_alu instid0(VALU_DEP_4) | instskip(NEXT) | instid1(VALU_DEP_1)
	v_dual_cndmask_b32 v3, v11, v9, vcc_lo :: v_dual_cndmask_b32 v5, v10, v8, vcc_lo
	v_dual_cndmask_b32 v6, v6, v5, s0 :: v_dual_mov_b32 v5, v4
	s_delay_alu instid0(VALU_DEP_1) | instskip(NEXT) | instid1(VALU_DEP_1)
	v_dual_cndmask_b32 v3, v7, v3, s0 :: v_dual_bitop2_b32 v6, v6, v4 bitop3:0x14
	v_xor_b32_e32 v7, v3, v4
	s_delay_alu instid0(VALU_DEP_1)
	v_sub_nc_u64_e32 v[4:5], v[6:7], v[4:5]
.LBB9_6:                                ;   in Loop: Header=BB9_4 Depth=1
	s_and_not1_saveexec_b32 s0, s1
	s_cbranch_execz .LBB9_8
; %bb.7:                                ;   in Loop: Header=BB9_4 Depth=1
	v_mul_hi_u32 v3, v0, v14
	s_delay_alu instid0(VALU_DEP_1) | instskip(NEXT) | instid1(VALU_DEP_1)
	v_mul_lo_u32 v4, v3, s6
	v_dual_add_nc_u32 v5, 1, v3 :: v_dual_sub_nc_u32 v4, v0, v4
	s_delay_alu instid0(VALU_DEP_1) | instskip(SKIP_1) | instid1(VALU_DEP_2)
	v_subrev_nc_u32_e32 v6, s6, v4
	v_cmp_le_u32_e32 vcc_lo, s6, v4
	v_dual_cndmask_b32 v4, v4, v6 :: v_dual_cndmask_b32 v3, v3, v5
	s_delay_alu instid0(VALU_DEP_1) | instskip(NEXT) | instid1(VALU_DEP_2)
	v_cmp_le_u32_e32 vcc_lo, s6, v4
	v_add_nc_u32_e32 v5, 1, v3
	s_delay_alu instid0(VALU_DEP_1)
	v_dual_cndmask_b32 v4, v3, v5 :: v_dual_mov_b32 v5, v2
.LBB9_8:                                ;   in Loop: Header=BB9_4 Depth=1
	s_or_b32 exec_lo, exec_lo, s0
	s_delay_alu instid0(VALU_DEP_1) | instskip(SKIP_1) | instid1(VALU_DEP_1)
	v_or_b32_e32 v3, s5, v5
                                        ; implicit-def: $vgpr10_vgpr11
	s_mov_b32 s0, exec_lo
	v_cmpx_ne_u64_e32 0, v[2:3]
	s_xor_b32 s1, exec_lo, s0
	s_cbranch_execz .LBB9_10
; %bb.9:                                ;   in Loop: Header=BB9_4 Depth=1
	s_mov_b32 s45, s44
	v_dual_mov_b32 v11, v2 :: v_dual_ashrrev_i32 v6, 31, v5
	s_add_nc_u64 s[46:47], s[4:5], s[44:45]
	s_delay_alu instid0(SALU_CYCLE_1) | instskip(NEXT) | instid1(VALU_DEP_1)
	s_xor_b64 s[46:47], s[46:47], s[44:45]
	v_mov_b32_e32 v7, v6
	s_cvt_f32_u32 s0, s46
	s_cvt_f32_u32 s22, s47
	s_sub_nc_u64 s[56:57], 0, s[46:47]
	s_delay_alu instid0(VALU_DEP_1) | instskip(NEXT) | instid1(SALU_CYCLE_1)
	v_add_nc_u64_e32 v[8:9], v[4:5], v[6:7]
	s_fmamk_f32 s0, s22, 0x4f800000, s0
	v_mov_b32_e32 v17, v2
	s_delay_alu instid0(SALU_CYCLE_2) | instskip(NEXT) | instid1(VALU_DEP_2)
	v_s_rcp_f32 s0, s0
	v_xor_b32_e32 v10, v8, v6
	s_delay_alu instid0(VALU_DEP_3) | instskip(NEXT) | instid1(TRANS32_DEP_1)
	v_dual_mov_b32 v21, v2 :: v_dual_bitop2_b32 v16, v9, v6 bitop3:0x14
	s_mul_f32 s0, s0, 0x5f7ffffc
	s_delay_alu instid0(SALU_CYCLE_3) | instskip(NEXT) | instid1(SALU_CYCLE_3)
	s_mul_f32 s22, s0, 0x2f800000
	s_trunc_f32 s22, s22
	s_delay_alu instid0(SALU_CYCLE_3) | instskip(SKIP_1) | instid1(SALU_CYCLE_2)
	s_fmamk_f32 s0, s22, 0xcf800000, s0
	s_cvt_u32_f32 s55, s22
	s_cvt_u32_f32 s54, s0
	s_delay_alu instid0(SALU_CYCLE_3) | instskip(NEXT) | instid1(SALU_CYCLE_1)
	s_mul_u64 s[58:59], s[56:57], s[54:55]
	s_mul_hi_u32 s61, s54, s59
	s_mul_i32 s60, s54, s59
	s_mul_hi_u32 s22, s54, s58
	s_mul_i32 s43, s55, s58
	s_add_nc_u64 s[60:61], s[22:23], s[60:61]
	s_mul_hi_u32 s0, s55, s58
	s_mul_hi_u32 s45, s55, s59
	s_add_co_u32 s22, s60, s43
	s_add_co_ci_u32 s22, s61, s0
	s_mul_i32 s58, s55, s59
	s_add_co_ci_u32 s59, s45, 0
	s_delay_alu instid0(SALU_CYCLE_1) | instskip(NEXT) | instid1(SALU_CYCLE_1)
	s_add_nc_u64 s[58:59], s[22:23], s[58:59]
	s_add_co_u32 s54, s54, s58
	s_cselect_b32 s0, -1, 0
	s_delay_alu instid0(SALU_CYCLE_1) | instskip(SKIP_1) | instid1(SALU_CYCLE_1)
	s_cmp_lg_u32 s0, 0
	s_add_co_ci_u32 s55, s55, s59
	s_mul_u64 s[56:57], s[56:57], s[54:55]
	s_delay_alu instid0(SALU_CYCLE_1)
	s_mul_hi_u32 s59, s54, s57
	s_mul_i32 s58, s54, s57
	s_mul_hi_u32 s22, s54, s56
	s_mul_i32 s43, s55, s56
	s_add_nc_u64 s[58:59], s[22:23], s[58:59]
	s_mul_hi_u32 s0, s55, s56
	s_mul_hi_u32 s45, s55, s57
	s_add_co_u32 s22, s58, s43
	s_add_co_ci_u32 s22, s59, s0
	s_mul_i32 s56, s55, s57
	s_add_co_ci_u32 s57, s45, 0
	s_delay_alu instid0(SALU_CYCLE_1) | instskip(NEXT) | instid1(SALU_CYCLE_1)
	s_add_nc_u64 s[56:57], s[22:23], s[56:57]
	s_add_co_u32 s0, s54, s56
	s_cselect_b32 s22, -1, 0
	v_mul_hi_u32 v20, v10, s0
	s_cmp_lg_u32 s22, 0
	s_add_co_ci_u32 s22, s55, s57
	s_and_b64 s[54:55], s[0:1], s[40:41]
	v_mul_u64_e32 v[12:13], s[22:23], v[10:11]
	v_mul_u64_e32 v[8:9], s[54:55], v[16:17]
	;; [unrolled: 1-line block ×3, first 2 shown]
	s_delay_alu instid0(VALU_DEP_3) | instskip(NEXT) | instid1(VALU_DEP_1)
	v_add_nc_u64_e32 v[12:13], v[20:21], v[12:13]
	v_add_co_u32 v3, vcc_lo, v12, v8
	s_delay_alu instid0(VALU_DEP_2) | instskip(NEXT) | instid1(VALU_DEP_4)
	v_add_co_ci_u32_e32 v20, vcc_lo, v13, v9, vcc_lo
	v_add_co_ci_u32_e32 v19, vcc_lo, 0, v19, vcc_lo
	s_delay_alu instid0(VALU_DEP_1) | instskip(NEXT) | instid1(VALU_DEP_1)
	v_add_nc_u64_e32 v[8:9], v[20:21], v[18:19]
	v_mul_u64_e32 v[12:13], s[46:47], v[8:9]
	s_delay_alu instid0(VALU_DEP_1) | instskip(NEXT) | instid1(VALU_DEP_2)
	v_sub_nc_u32_e32 v3, v16, v13
	v_sub_co_u32 v5, vcc_lo, v10, v12
	s_delay_alu instid0(VALU_DEP_1) | instskip(NEXT) | instid1(VALU_DEP_3)
	v_sub_co_ci_u32_e64 v15, null, v16, v13, vcc_lo
	v_subrev_co_ci_u32_e64 v3, null, s47, v3, vcc_lo
	s_delay_alu instid0(VALU_DEP_3) | instskip(SKIP_1) | instid1(VALU_DEP_3)
	v_sub_co_u32 v7, s0, v5, s46
	v_add_nc_u64_e32 v[12:13], 1, v[8:9]
	v_subrev_co_ci_u32_e64 v3, null, 0, v3, s0
	s_delay_alu instid0(VALU_DEP_3) | instskip(SKIP_1) | instid1(VALU_DEP_3)
	v_cmp_le_u32_e32 vcc_lo, s46, v7
	v_cndmask_b32_e64 v7, 0, -1, vcc_lo
	v_cmp_le_u32_e32 vcc_lo, s47, v3
	v_cndmask_b32_e64 v10, 0, -1, vcc_lo
	;; [unrolled: 2-line block ×4, first 2 shown]
	v_cmp_eq_u32_e32 vcc_lo, s47, v3
	v_cndmask_b32_e32 v3, v10, v7, vcc_lo
	v_cmp_eq_u32_e32 vcc_lo, s47, v15
	v_add_nc_u64_e32 v[10:11], 2, v[8:9]
	v_cndmask_b32_e32 v5, v16, v5, vcc_lo
	s_delay_alu instid0(VALU_DEP_4) | instskip(NEXT) | instid1(VALU_DEP_2)
	v_cmp_ne_u32_e32 vcc_lo, 0, v3
	v_cmp_ne_u32_e64 s0, 0, v5
	s_delay_alu instid0(VALU_DEP_4) | instskip(NEXT) | instid1(VALU_DEP_1)
	v_dual_cndmask_b32 v3, v13, v11, vcc_lo :: v_dual_cndmask_b32 v5, v12, v10, vcc_lo
	v_dual_cndmask_b32 v3, v9, v3, s0 :: v_dual_bitop2_b32 v6, s44, v6 bitop3:0x14
	s_delay_alu instid0(VALU_DEP_1) | instskip(NEXT) | instid1(VALU_DEP_2)
	v_dual_cndmask_b32 v5, v8, v5, s0 :: v_dual_mov_b32 v7, v6
	v_xor_b32_e32 v9, v3, v6
	s_delay_alu instid0(VALU_DEP_2) | instskip(NEXT) | instid1(VALU_DEP_1)
	v_xor_b32_e32 v8, v5, v6
	v_sub_nc_u64_e32 v[10:11], v[8:9], v[6:7]
.LBB9_10:                               ;   in Loop: Header=BB9_4 Depth=1
	s_and_not1_saveexec_b32 s0, s1
	s_cbranch_execz .LBB9_12
; %bb.11:                               ;   in Loop: Header=BB9_4 Depth=1
	v_cvt_f32_u32_e32 v3, s4
	s_sub_co_i32 s1, 0, s4
	v_mov_b32_e32 v11, v2
	s_delay_alu instid0(VALU_DEP_2) | instskip(SKIP_1) | instid1(TRANS32_DEP_1)
	v_rcp_iflag_f32_e32 v3, v3
	v_nop
	v_mul_f32_e32 v3, 0x4f7ffffe, v3
	s_delay_alu instid0(VALU_DEP_1) | instskip(NEXT) | instid1(VALU_DEP_1)
	v_cvt_u32_f32_e32 v3, v3
	v_mul_lo_u32 v5, s1, v3
	s_delay_alu instid0(VALU_DEP_1) | instskip(NEXT) | instid1(VALU_DEP_1)
	v_mul_hi_u32 v5, v3, v5
	v_add_nc_u32_e32 v3, v3, v5
	s_delay_alu instid0(VALU_DEP_1) | instskip(NEXT) | instid1(VALU_DEP_1)
	v_mul_hi_u32 v3, v4, v3
	v_mul_lo_u32 v5, v3, s4
	s_delay_alu instid0(VALU_DEP_1) | instskip(NEXT) | instid1(VALU_DEP_1)
	v_dual_add_nc_u32 v6, 1, v3 :: v_dual_sub_nc_u32 v5, v4, v5
	v_subrev_nc_u32_e32 v7, s4, v5
	v_cmp_le_u32_e32 vcc_lo, s4, v5
	s_delay_alu instid0(VALU_DEP_2) | instskip(NEXT) | instid1(VALU_DEP_1)
	v_dual_cndmask_b32 v5, v5, v7, vcc_lo :: v_dual_cndmask_b32 v3, v3, v6, vcc_lo
	v_cmp_le_u32_e32 vcc_lo, s4, v5
	s_delay_alu instid0(VALU_DEP_2) | instskip(NEXT) | instid1(VALU_DEP_1)
	v_add_nc_u32_e32 v6, 1, v3
	v_cndmask_b32_e32 v10, v3, v6, vcc_lo
.LBB9_12:                               ;   in Loop: Header=BB9_4 Depth=1
	s_or_b32 exec_lo, exec_lo, s0
	s_delay_alu instid0(VALU_DEP_1) | instskip(SKIP_2) | instid1(VALU_DEP_2)
	v_mul_lo_u32 v3, v10, s4
	s_mov_b32 s0, exec_lo
	v_dual_mov_b32 v6, 0 :: v_dual_mov_b32 v8, 0
	v_sub_nc_u32_e32 v3, v4, v3
	s_delay_alu instid0(VALU_DEP_1) | instskip(NEXT) | instid1(VALU_DEP_1)
	v_add_nc_u32_e32 v3, s16, v3
	v_cmpx_le_i32_e64 s12, v3
	s_cbranch_execz .LBB9_14
; %bb.13:                               ;   in Loop: Header=BB9_4 Depth=1
	v_subrev_nc_u32_e32 v8, s12, v3
	v_mov_b32_e32 v9, v2
	s_delay_alu instid0(VALU_DEP_1) | instskip(NEXT) | instid1(VALU_DEP_1)
	v_mul_u64_e32 v[12:13], s[30:31], v[8:9]
	v_mul_lo_u32 v5, v13, s25
	s_delay_alu instid0(VALU_DEP_1) | instskip(NEXT) | instid1(VALU_DEP_1)
	v_sub_nc_u32_e32 v5, v8, v5
	v_subrev_nc_u32_e32 v8, s25, v5
	v_cmp_le_u32_e32 vcc_lo, s25, v5
	s_delay_alu instid0(VALU_DEP_2) | instskip(NEXT) | instid1(VALU_DEP_1)
	v_dual_add_nc_u32 v7, 1, v13 :: v_dual_cndmask_b32 v5, v5, v8, vcc_lo
	v_cndmask_b32_e32 v7, v13, v7, vcc_lo
	s_delay_alu instid0(VALU_DEP_2) | instskip(NEXT) | instid1(VALU_DEP_2)
	v_cmp_le_u32_e32 vcc_lo, s25, v5
	v_add_nc_u32_e32 v8, 1, v7
	s_delay_alu instid0(VALU_DEP_1) | instskip(NEXT) | instid1(VALU_DEP_1)
	v_cndmask_b32_e32 v5, v7, v8, vcc_lo
	v_xor_b32_e32 v5, s50, v5
	s_delay_alu instid0(VALU_DEP_1) | instskip(NEXT) | instid1(VALU_DEP_1)
	v_subrev_nc_u32_e32 v5, s50, v5
	v_add_nc_u32_e32 v8, 1, v5
.LBB9_14:                               ;   in Loop: Header=BB9_4 Depth=1
	s_or_b32 exec_lo, exec_lo, s0
	v_mul_lo_u32 v4, v4, s6
	s_mov_b32 s0, exec_lo
	s_delay_alu instid0(VALU_DEP_1) | instskip(NEXT) | instid1(VALU_DEP_1)
	v_sub_nc_u32_e32 v4, v0, v4
	v_add_nc_u32_e32 v12, s17, v4
	s_delay_alu instid0(VALU_DEP_1)
	v_cmpx_le_i32_e64 s13, v12
	s_cbranch_execz .LBB9_16
; %bb.15:                               ;   in Loop: Header=BB9_4 Depth=1
	v_subrev_nc_u32_e32 v4, s13, v12
	v_mov_b32_e32 v5, v2
	s_delay_alu instid0(VALU_DEP_1) | instskip(NEXT) | instid1(VALU_DEP_1)
	v_mul_u64_e32 v[6:7], s[34:35], v[4:5]
	v_mul_lo_u32 v5, v7, s33
	s_delay_alu instid0(VALU_DEP_1) | instskip(NEXT) | instid1(VALU_DEP_1)
	v_dual_sub_nc_u32 v4, v4, v5 :: v_dual_add_nc_u32 v5, 1, v7
	v_subrev_nc_u32_e32 v6, s33, v4
	v_cmp_le_u32_e32 vcc_lo, s33, v4
	s_delay_alu instid0(VALU_DEP_2) | instskip(NEXT) | instid1(VALU_DEP_1)
	v_dual_cndmask_b32 v5, v7, v5 :: v_dual_cndmask_b32 v4, v4, v6
	v_add_nc_u32_e32 v6, 1, v5
	s_delay_alu instid0(VALU_DEP_2) | instskip(NEXT) | instid1(VALU_DEP_2)
	v_cmp_le_u32_e32 vcc_lo, s33, v4
	v_cndmask_b32_e32 v4, v5, v6, vcc_lo
	s_delay_alu instid0(VALU_DEP_1) | instskip(NEXT) | instid1(VALU_DEP_1)
	v_xor_b32_e32 v4, s51, v4
	v_subrev_nc_u32_e32 v4, s51, v4
	s_delay_alu instid0(VALU_DEP_1)
	v_add_nc_u32_e32 v6, 1, v4
.LBB9_16:                               ;   in Loop: Header=BB9_4 Depth=1
	s_or_b32 exec_lo, exec_lo, s0
	v_dual_mov_b32 v5, v2 :: v_dual_sub_nc_u32 v4, 0, v3
	s_mov_b32 s22, exec_lo
	s_delay_alu instid0(VALU_DEP_1) | instskip(NEXT) | instid1(VALU_DEP_1)
	v_max_i32_e32 v4, v3, v4
	v_mul_u64_e32 v[16:17], s[30:31], v[4:5]
	s_delay_alu instid0(VALU_DEP_1) | instskip(NEXT) | instid1(VALU_DEP_1)
	v_mul_lo_u32 v5, v17, s25
	v_sub_nc_u32_e32 v4, v4, v5
	v_add_nc_u32_e32 v5, 1, v17
	s_delay_alu instid0(VALU_DEP_2) | instskip(NEXT) | instid1(VALU_DEP_2)
	v_cmp_le_u32_e32 vcc_lo, s25, v4
	v_cndmask_b32_e32 v5, v17, v5, vcc_lo
	v_subrev_nc_u32_e32 v7, s25, v4
	v_ashrrev_i32_e32 v3, 31, v3
	s_delay_alu instid0(VALU_DEP_2) | instskip(NEXT) | instid1(VALU_DEP_2)
	v_dual_cndmask_b32 v4, v4, v7 :: v_dual_add_nc_u32 v7, 1, v5
	v_xor_b32_e32 v3, s50, v3
	s_delay_alu instid0(VALU_DEP_2) | instskip(NEXT) | instid1(VALU_DEP_3)
	v_cmp_le_u32_e32 vcc_lo, s25, v4
	v_cndmask_b32_e32 v4, v5, v7, vcc_lo
	s_delay_alu instid0(VALU_DEP_1) | instskip(NEXT) | instid1(VALU_DEP_1)
	v_xor_b32_e32 v4, v4, v3
	v_sub_nc_u32_e32 v3, v4, v3
	v_mov_b64_e32 v[4:5], 0
	s_delay_alu instid0(VALU_DEP_2) | instskip(NEXT) | instid1(VALU_DEP_1)
	v_add_min_i32_e64 v3, v3, 1, s8
	v_cmpx_lt_i32_e64 v8, v3
	s_cbranch_execz .LBB9_3
; %bb.17:                               ;   in Loop: Header=BB9_4 Depth=1
	v_dual_mov_b32 v5, v2 :: v_dual_sub_nc_u32 v4, 0, v12
	s_mov_b32 s43, 0
	s_delay_alu instid0(VALU_DEP_1) | instskip(NEXT) | instid1(VALU_DEP_1)
	v_dual_ashrrev_i32 v7, 31, v6 :: v_dual_max_i32 v4, v12, v4
	v_lshlrev_b64_e32 v[20:21], 3, v[6:7]
	s_delay_alu instid0(VALU_DEP_2) | instskip(NEXT) | instid1(VALU_DEP_1)
	v_mul_u64_e32 v[16:17], s[34:35], v[4:5]
	v_mul_lo_u32 v5, v17, s33
	v_dual_ashrrev_i32 v9, 31, v8 :: v_dual_add_nc_u32 v7, 1, v17
	s_delay_alu instid0(VALU_DEP_2) | instskip(NEXT) | instid1(VALU_DEP_2)
	v_sub_nc_u32_e32 v4, v4, v5
	v_lshlrev_b64_e32 v[18:19], 3, v[8:9]
	s_delay_alu instid0(VALU_DEP_2) | instskip(SKIP_1) | instid1(VALU_DEP_3)
	v_subrev_nc_u32_e32 v9, s33, v4
	v_cmp_le_u32_e32 vcc_lo, s33, v4
	v_mad_nc_u64_u32 v[18:19], s36, v10, v[18:19]
	s_delay_alu instid0(VALU_DEP_3) | instskip(NEXT) | instid1(VALU_DEP_2)
	v_cndmask_b32_e32 v4, v4, v9, vcc_lo
	v_mad_u32 v5, s37, v10, v19
	s_delay_alu instid0(VALU_DEP_3) | instskip(SKIP_3) | instid1(VALU_DEP_3)
	v_mad_nc_u64_u32 v[20:21], s10, v18, v[20:21]
	v_dual_cndmask_b32 v7, v17, v7 :: v_dual_ashrrev_i32 v10, 31, v12
	v_mul_lo_u32 v12, s15, v6
	v_cmp_le_u32_e32 vcc_lo, s33, v4
	v_dual_add_nc_u32 v9, 1, v7 :: v_dual_bitop2_b32 v10, s51, v10 bitop3:0x14
	v_mad_u32 v5, s36, v11, v5
	v_mad_u32 v11, s11, v18, v21
	s_delay_alu instid0(VALU_DEP_3) | instskip(SKIP_1) | instid1(VALU_DEP_2)
	v_dual_cndmask_b32 v4, v7, v9 :: v_dual_add_nc_u32 v9, s9, v12
	v_dual_add_nc_u32 v15, s52, v12 :: v_dual_sub_nc_u32 v16, s17, v12
	v_xor_b32_e32 v4, v4, v10
	s_delay_alu instid0(VALU_DEP_1) | instskip(SKIP_1) | instid1(VALU_DEP_2)
	v_sub_nc_u32_e32 v4, v4, v10
	v_mad_u32 v21, s10, v5, v11
	v_add_min_i32_e64 v7, v4, 1, s10
	v_mov_b64_e32 v[4:5], 0
	s_delay_alu instid0(VALU_DEP_2) | instskip(SKIP_1) | instid1(VALU_DEP_4)
	v_cmp_lt_i32_e64 s0, v6, v7
	s_wait_kmcnt 0x0
	v_add_nc_u64_e32 v[10:11], s[26:27], v[20:21]
	s_branch .LBB9_20
.LBB9_18:                               ;   in Loop: Header=BB9_20 Depth=2
	s_or_b32 exec_lo, exec_lo, s46
.LBB9_19:                               ;   in Loop: Header=BB9_20 Depth=2
	s_delay_alu instid0(SALU_CYCLE_1) | instskip(SKIP_1) | instid1(VALU_DEP_2)
	s_or_b32 exec_lo, exec_lo, s45
	v_add_nc_u32_e32 v8, 1, v8
	v_add_nc_u64_e32 v[10:11], s[38:39], v[10:11]
	s_delay_alu instid0(VALU_DEP_2) | instskip(SKIP_1) | instid1(SALU_CYCLE_1)
	v_cmp_ge_i32_e32 vcc_lo, v8, v3
	s_or_b32 s43, vcc_lo, s43
	s_and_not1_b32 exec_lo, exec_lo, s43
	s_cbranch_execz .LBB9_2
.LBB9_20:                               ;   Parent Loop BB9_4 Depth=1
                                        ; =>  This Loop Header: Depth=2
                                        ;       Child Loop BB9_23 Depth 3
	s_delay_alu instid0(VALU_DEP_2)
	s_and_saveexec_b32 s45, s0
	s_cbranch_execz .LBB9_19
; %bb.21:                               ;   in Loop: Header=BB9_20 Depth=2
	v_mul_lo_u32 v12, v8, s14
	s_mov_b32 s46, 0
	v_mov_b32_e32 v18, v15
	s_delay_alu instid0(VALU_DEP_2) | instskip(SKIP_2) | instid1(VALU_DEP_3)
	v_subrev_nc_u32_e32 v20, s16, v12
	v_mov_b32_e32 v17, v16
	v_mov_b64_e32 v[12:13], v[10:11]
	v_add_min_i32_e64 v21, v20, s12, s48
	v_max_i32_e32 v22, 0, v20
	s_delay_alu instid0(VALU_DEP_2) | instskip(SKIP_1) | instid1(VALU_DEP_2)
	v_dual_mov_b32 v19, v9 :: v_dual_min_i32 v23, s4, v21
	v_sub_nc_u32_e32 v20, v21, v20
	v_cmp_gt_i32_e64 s1, v23, v22
	v_dual_mov_b32 v22, v6 :: v_dual_sub_nc_u32 v21, v23, v22
	s_branch .LBB9_23
.LBB9_22:                               ;   in Loop: Header=BB9_23 Depth=3
	s_wait_xcnt 0x0
	s_or_b32 exec_lo, exec_lo, s47
	v_dual_add_nc_u32 v22, 1, v22 :: v_dual_add_nc_u32 v19, s15, v19
	v_add_nc_u64_e32 v[12:13], 8, v[12:13]
	v_add_nc_u32_e32 v18, s15, v18
	v_subrev_nc_u32_e32 v17, s15, v17
	s_delay_alu instid0(VALU_DEP_4) | instskip(SKIP_1) | instid1(SALU_CYCLE_1)
	v_cmp_ge_i32_e32 vcc_lo, v22, v7
	s_or_b32 s46, vcc_lo, s46
	s_and_not1_b32 exec_lo, exec_lo, s46
	s_cbranch_execz .LBB9_18
.LBB9_23:                               ;   Parent Loop BB9_4 Depth=1
                                        ;     Parent Loop BB9_20 Depth=2
                                        ; =>    This Inner Loop Header: Depth=3
	v_dual_add_nc_u32 v24, s13, v19 :: v_dual_max_i32 v23, 0, v19
	s_delay_alu instid0(VALU_DEP_1) | instskip(NEXT) | instid1(VALU_DEP_1)
	v_min3_i32 v24, v24, s49, s6
	v_cmp_gt_i32_e32 vcc_lo, v24, v23
	s_and_b32 s54, s1, vcc_lo
	s_delay_alu instid0(SALU_CYCLE_1)
	s_and_saveexec_b32 s47, s54
	s_cbranch_execz .LBB9_22
; %bb.24:                               ;   in Loop: Header=BB9_23 Depth=3
	global_load_b64 v[26:27], v[12:13], off
	v_dual_sub_nc_u32 v23, v24, v23 :: v_dual_min_i32 v25, s49, v18
	s_delay_alu instid0(VALU_DEP_1) | instskip(NEXT) | instid1(VALU_DEP_2)
	v_add_nc_u32_e32 v24, v25, v17
	v_mul_lo_u32 v23, v23, v21
	s_delay_alu instid0(VALU_DEP_2) | instskip(NEXT) | instid1(VALU_DEP_1)
	v_mul_lo_u32 v24, v24, v20
	v_cndmask_b32_e64 v23, v23, v24, s2
	s_delay_alu instid0(VALU_DEP_1) | instskip(NEXT) | instid1(VALU_DEP_1)
	v_cndmask_b32_e64 v23, v23, s24, s3
	v_cvt_f64_i32_e32 v[24:25], v23
	s_wait_loadcnt 0x0
	s_delay_alu instid0(VALU_DEP_1) | instskip(NEXT) | instid1(VALU_DEP_1)
	v_div_scale_f64 v[28:29], null, v[24:25], v[24:25], v[26:27]
	v_rcp_f64_e32 v[30:31], v[28:29]
	v_nop
	s_delay_alu instid0(TRANS32_DEP_1) | instskip(NEXT) | instid1(VALU_DEP_1)
	v_fma_f64 v[32:33], -v[28:29], v[30:31], 1.0
	v_fmac_f64_e32 v[30:31], v[30:31], v[32:33]
	s_delay_alu instid0(VALU_DEP_1) | instskip(NEXT) | instid1(VALU_DEP_1)
	v_fma_f64 v[32:33], -v[28:29], v[30:31], 1.0
	v_fmac_f64_e32 v[30:31], v[30:31], v[32:33]
	v_div_scale_f64 v[32:33], vcc_lo, v[26:27], v[24:25], v[26:27]
	s_delay_alu instid0(VALU_DEP_1) | instskip(NEXT) | instid1(VALU_DEP_1)
	v_mul_f64_e32 v[34:35], v[32:33], v[30:31]
	v_fma_f64 v[28:29], -v[28:29], v[34:35], v[32:33]
	s_delay_alu instid0(VALU_DEP_1) | instskip(NEXT) | instid1(VALU_DEP_1)
	v_div_fmas_f64 v[28:29], v[28:29], v[30:31], v[34:35]
	v_div_fixup_f64 v[24:25], v[28:29], v[24:25], v[26:27]
	s_delay_alu instid0(VALU_DEP_1)
	v_add_f64_e32 v[4:5], v[4:5], v[24:25]
	s_branch .LBB9_22
.LBB9_25:
	s_endpgm
	.section	.rodata,"a",@progbits
	.p2align	6, 0x0
	.amdhsa_kernel _ZN2at6native12_GLOBAL__N_134avg_pool2d_backward_out_cuda_frameIddiEEvT1_PKT_llllliiiiiiPS4_ibb
		.amdhsa_group_segment_fixed_size 0
		.amdhsa_private_segment_fixed_size 0
		.amdhsa_kernarg_size 352
		.amdhsa_user_sgpr_count 2
		.amdhsa_user_sgpr_dispatch_ptr 0
		.amdhsa_user_sgpr_queue_ptr 0
		.amdhsa_user_sgpr_kernarg_segment_ptr 1
		.amdhsa_user_sgpr_dispatch_id 0
		.amdhsa_user_sgpr_kernarg_preload_length 0
		.amdhsa_user_sgpr_kernarg_preload_offset 0
		.amdhsa_user_sgpr_private_segment_size 0
		.amdhsa_wavefront_size32 1
		.amdhsa_uses_dynamic_stack 0
		.amdhsa_enable_private_segment 0
		.amdhsa_system_sgpr_workgroup_id_x 1
		.amdhsa_system_sgpr_workgroup_id_y 0
		.amdhsa_system_sgpr_workgroup_id_z 0
		.amdhsa_system_sgpr_workgroup_info 0
		.amdhsa_system_vgpr_workitem_id 0
		.amdhsa_next_free_vgpr 36
		.amdhsa_next_free_sgpr 62
		.amdhsa_named_barrier_count 0
		.amdhsa_reserve_vcc 1
		.amdhsa_float_round_mode_32 0
		.amdhsa_float_round_mode_16_64 0
		.amdhsa_float_denorm_mode_32 3
		.amdhsa_float_denorm_mode_16_64 3
		.amdhsa_fp16_overflow 0
		.amdhsa_memory_ordered 1
		.amdhsa_forward_progress 1
		.amdhsa_inst_pref_size 24
		.amdhsa_round_robin_scheduling 0
		.amdhsa_exception_fp_ieee_invalid_op 0
		.amdhsa_exception_fp_denorm_src 0
		.amdhsa_exception_fp_ieee_div_zero 0
		.amdhsa_exception_fp_ieee_overflow 0
		.amdhsa_exception_fp_ieee_underflow 0
		.amdhsa_exception_fp_ieee_inexact 0
		.amdhsa_exception_int_div_zero 0
	.end_amdhsa_kernel
	.section	.text._ZN2at6native12_GLOBAL__N_134avg_pool2d_backward_out_cuda_frameIddiEEvT1_PKT_llllliiiiiiPS4_ibb,"axG",@progbits,_ZN2at6native12_GLOBAL__N_134avg_pool2d_backward_out_cuda_frameIddiEEvT1_PKT_llllliiiiiiPS4_ibb,comdat
.Lfunc_end9:
	.size	_ZN2at6native12_GLOBAL__N_134avg_pool2d_backward_out_cuda_frameIddiEEvT1_PKT_llllliiiiiiPS4_ibb, .Lfunc_end9-_ZN2at6native12_GLOBAL__N_134avg_pool2d_backward_out_cuda_frameIddiEEvT1_PKT_llllliiiiiiPS4_ibb
                                        ; -- End function
	.set _ZN2at6native12_GLOBAL__N_134avg_pool2d_backward_out_cuda_frameIddiEEvT1_PKT_llllliiiiiiPS4_ibb.num_vgpr, 36
	.set _ZN2at6native12_GLOBAL__N_134avg_pool2d_backward_out_cuda_frameIddiEEvT1_PKT_llllliiiiiiPS4_ibb.num_agpr, 0
	.set _ZN2at6native12_GLOBAL__N_134avg_pool2d_backward_out_cuda_frameIddiEEvT1_PKT_llllliiiiiiPS4_ibb.numbered_sgpr, 62
	.set _ZN2at6native12_GLOBAL__N_134avg_pool2d_backward_out_cuda_frameIddiEEvT1_PKT_llllliiiiiiPS4_ibb.num_named_barrier, 0
	.set _ZN2at6native12_GLOBAL__N_134avg_pool2d_backward_out_cuda_frameIddiEEvT1_PKT_llllliiiiiiPS4_ibb.private_seg_size, 0
	.set _ZN2at6native12_GLOBAL__N_134avg_pool2d_backward_out_cuda_frameIddiEEvT1_PKT_llllliiiiiiPS4_ibb.uses_vcc, 1
	.set _ZN2at6native12_GLOBAL__N_134avg_pool2d_backward_out_cuda_frameIddiEEvT1_PKT_llllliiiiiiPS4_ibb.uses_flat_scratch, 0
	.set _ZN2at6native12_GLOBAL__N_134avg_pool2d_backward_out_cuda_frameIddiEEvT1_PKT_llllliiiiiiPS4_ibb.has_dyn_sized_stack, 0
	.set _ZN2at6native12_GLOBAL__N_134avg_pool2d_backward_out_cuda_frameIddiEEvT1_PKT_llllliiiiiiPS4_ibb.has_recursion, 0
	.set _ZN2at6native12_GLOBAL__N_134avg_pool2d_backward_out_cuda_frameIddiEEvT1_PKT_llllliiiiiiPS4_ibb.has_indirect_call, 0
	.section	.AMDGPU.csdata,"",@progbits
; Kernel info:
; codeLenInByte = 2976
; TotalNumSgprs: 64
; NumVgprs: 36
; ScratchSize: 0
; MemoryBound: 0
; FloatMode: 240
; IeeeMode: 1
; LDSByteSize: 0 bytes/workgroup (compile time only)
; SGPRBlocks: 0
; VGPRBlocks: 2
; NumSGPRsForWavesPerEU: 64
; NumVGPRsForWavesPerEU: 36
; NamedBarCnt: 0
; Occupancy: 16
; WaveLimiterHint : 0
; COMPUTE_PGM_RSRC2:SCRATCH_EN: 0
; COMPUTE_PGM_RSRC2:USER_SGPR: 2
; COMPUTE_PGM_RSRC2:TRAP_HANDLER: 0
; COMPUTE_PGM_RSRC2:TGID_X_EN: 1
; COMPUTE_PGM_RSRC2:TGID_Y_EN: 0
; COMPUTE_PGM_RSRC2:TGID_Z_EN: 0
; COMPUTE_PGM_RSRC2:TIDIG_COMP_CNT: 0
	.section	.text._ZN2at6native12_GLOBAL__N_139avg_pool2d_backward_out_cuda_frame_nhwcIddlEEvT1_PKT_llliiiiiiiiPS4_ibb,"axG",@progbits,_ZN2at6native12_GLOBAL__N_139avg_pool2d_backward_out_cuda_frame_nhwcIddlEEvT1_PKT_llliiiiiiiiPS4_ibb,comdat
	.globl	_ZN2at6native12_GLOBAL__N_139avg_pool2d_backward_out_cuda_frame_nhwcIddlEEvT1_PKT_llliiiiiiiiPS4_ibb ; -- Begin function _ZN2at6native12_GLOBAL__N_139avg_pool2d_backward_out_cuda_frame_nhwcIddlEEvT1_PKT_llliiiiiiiiPS4_ibb
	.p2align	8
	.type	_ZN2at6native12_GLOBAL__N_139avg_pool2d_backward_out_cuda_frame_nhwcIddlEEvT1_PKT_llliiiiiiiiPS4_ibb,@function
_ZN2at6native12_GLOBAL__N_139avg_pool2d_backward_out_cuda_frame_nhwcIddlEEvT1_PKT_llliiiiiiiiPS4_ibb: ; @_ZN2at6native12_GLOBAL__N_139avg_pool2d_backward_out_cuda_frame_nhwcIddlEEvT1_PKT_llliiiiiiiiPS4_ibb
; %bb.0:
	s_load_b32 s2, s[0:1], 0x64
	s_bfe_u32 s4, ttmp6, 0x4000c
	v_mov_b32_e32 v2, 0
	s_add_co_i32 s13, s4, 1
	s_load_b256 s[4:11], s[0:1], 0x0
	s_and_b32 s3, ttmp6, 15
	s_mul_i32 s13, ttmp9, s13
	s_getreg_b32 s12, hwreg(HW_REG_IB_STS2, 6, 4)
	v_mov_b32_e32 v1, v2
	s_add_co_i32 s3, s3, s13
	s_wait_kmcnt 0x0
	s_and_b32 s2, s2, 0xffff
	s_cmp_eq_u32 s12, 0
	s_mov_b32 s12, exec_lo
	s_cselect_b32 s3, ttmp9, s3
	s_delay_alu instid0(SALU_CYCLE_1) | instskip(SKIP_1) | instid1(VALU_DEP_1)
	v_mad_nc_u64_u32 v[0:1], s2, s3, v[0:1]
	s_mov_b32 s3, 0
	v_cmpx_gt_i64_e64 s[4:5], v[0:1]
	s_cbranch_execz .LBB10_29
; %bb.1:
	s_clause 0x2
	s_load_b128 s[20:23], s[0:1], 0x48
	s_load_b256 s[12:19], s[0:1], 0x28
	s_load_b32 s28, s[0:1], 0x54
	v_cvt_f32_u32_e32 v3, s8
	s_add_nc_u64 s[26:27], s[0:1], 0x58
	s_load_b32 s30, s[26:27], 0x0
	s_load_b64 s[24:25], s[0:1], 0x20
	s_wait_xcnt 0x0
	s_mov_b32 s27, s3
	v_rcp_iflag_f32_e32 v3, v3
	s_mov_b32 s29, s3
	s_mov_b32 s31, s3
	s_mov_b64 s[34:35], 0xffffffff
	s_mov_b32 s51, 0
	v_nop
	s_delay_alu instid0(TRANS32_DEP_1) | instskip(NEXT) | instid1(VALU_DEP_1)
	v_mul_f32_e32 v3, 0x4f7ffffe, v3
	v_cvt_u32_f32_e32 v10, v3
	s_wait_kmcnt 0x0
	s_bitcmp1_b32 s23, 0
	s_mov_b32 s38, s12
	s_cselect_b32 s0, -1, 0
	s_bitcmp1_b32 s28, 8
	s_mul_i32 s26, s30, s2
	s_cselect_b32 s23, -1, 0
	s_abs_i32 s33, s16
	s_abs_i32 s44, s17
	s_cvt_f32_u32 s1, s33
	s_cvt_f32_u32 s28, s44
	s_sub_co_i32 s30, 0, s44
	s_ashr_i32 s39, s12, 31
	v_rcp_iflag_f32_e32 v3, s1
	v_rcp_iflag_f32_e32 v4, s28
	s_sub_co_i32 s28, 0, s33
	s_mov_b32 s40, s13
	s_ashr_i32 s41, s13, 31
	s_mul_u64 s[38:39], s[8:9], s[38:39]
	s_add_co_i32 s45, s18, s10
	v_readfirstlane_b32 s1, v3
	v_readfirstlane_b32 s2, v4
	s_add_co_i32 s46, s19, s24
	s_ashr_i32 s47, s16, 31
	s_ashr_i32 s48, s17, 31
	s_mul_f32 s1, s1, 0x4f7ffffe
	s_mul_f32 s2, s2, 0x4f7ffffe
	s_sub_co_i32 s49, 0, s19
	s_sub_co_i32 s50, s15, s19
	s_cvt_u32_f32 s1, s1
	s_cvt_u32_f32 s2, s2
	s_ashr_i32 s36, s9, 31
	s_mul_u64 s[38:39], s[38:39], s[40:41]
	s_mul_i32 s28, s28, s1
	s_mul_i32 s30, s30, s2
	s_mul_hi_u32 s28, s1, s28
	s_mul_hi_u32 s30, s2, s30
	s_add_co_i32 s28, s1, s28
	s_add_co_i32 s30, s2, s30
	s_branch .LBB10_4
.LBB10_2:                               ;   in Loop: Header=BB10_4 Depth=1
	s_or_b32 exec_lo, exec_lo, s40
.LBB10_3:                               ;   in Loop: Header=BB10_4 Depth=1
	s_delay_alu instid0(SALU_CYCLE_1)
	s_or_b32 exec_lo, exec_lo, s37
	v_lshl_add_u64 v[4:5], v[0:1], 3, s[20:21]
	v_add_nc_u64_e32 v[0:1], s[26:27], v[0:1]
	global_store_b64 v[4:5], v[6:7], off
	v_cmp_le_i64_e32 vcc_lo, s[4:5], v[0:1]
	s_or_b32 s51, vcc_lo, s51
	s_wait_xcnt 0x0
	s_and_not1_b32 exec_lo, exec_lo, s51
	s_cbranch_execz .LBB10_29
.LBB10_4:                               ; =>This Loop Header: Depth=1
                                        ;     Child Loop BB10_24 Depth 2
                                        ;       Child Loop BB10_27 Depth 3
	v_or_b32_e32 v3, s9, v1
                                        ; implicit-def: $vgpr4_vgpr5
	s_mov_b32 s1, exec_lo
	s_delay_alu instid0(VALU_DEP_1)
	v_cmpx_ne_u64_e32 0, v[2:3]
	s_xor_b32 s42, exec_lo, s1
	s_cbranch_execz .LBB10_6
; %bb.5:                                ;   in Loop: Header=BB10_4 Depth=1
	s_mov_b32 s37, s36
	v_dual_mov_b32 v9, v2 :: v_dual_ashrrev_i32 v4, 31, v1
	s_add_nc_u64 s[40:41], s[8:9], s[36:37]
	v_mov_b32_e32 v19, v2
	s_xor_b64 s[40:41], s[40:41], s[36:37]
	s_delay_alu instid0(VALU_DEP_2) | instskip(SKIP_3) | instid1(VALU_DEP_1)
	v_mov_b32_e32 v5, v4
	s_cvt_f32_u32 s1, s40
	s_cvt_f32_u32 s2, s41
	s_sub_nc_u64 s[54:55], 0, s[40:41]
	v_add_nc_u64_e32 v[6:7], v[0:1], v[4:5]
	s_delay_alu instid0(SALU_CYCLE_1) | instskip(SKIP_1) | instid1(SALU_CYCLE_2)
	s_fmamk_f32 s1, s2, 0x4f800000, s1
	v_mov_b32_e32 v15, v2
	v_s_rcp_f32 s1, s1
	s_delay_alu instid0(VALU_DEP_2) | instskip(NEXT) | instid1(VALU_DEP_3)
	v_xor_b32_e32 v8, v6, v4
	v_xor_b32_e32 v14, v7, v4
	;; [unrolled: 1-line block ×3, first 2 shown]
	s_delay_alu instid0(TRANS32_DEP_1) | instskip(NEXT) | instid1(SALU_CYCLE_3)
	s_mul_f32 s1, s1, 0x5f7ffffc
	s_mul_f32 s2, s1, 0x2f800000
	s_delay_alu instid0(SALU_CYCLE_3) | instskip(NEXT) | instid1(SALU_CYCLE_3)
	s_trunc_f32 s2, s2
	s_fmamk_f32 s1, s2, 0xcf800000, s1
	s_cvt_u32_f32 s53, s2
	s_delay_alu instid0(SALU_CYCLE_2) | instskip(NEXT) | instid1(SALU_CYCLE_3)
	s_cvt_u32_f32 s52, s1
	s_mul_u64 s[56:57], s[54:55], s[52:53]
	s_delay_alu instid0(SALU_CYCLE_1)
	s_mul_hi_u32 s59, s52, s57
	s_mul_i32 s58, s52, s57
	s_mul_hi_u32 s2, s52, s56
	s_mul_i32 s37, s53, s56
	s_add_nc_u64 s[58:59], s[2:3], s[58:59]
	s_mul_hi_u32 s1, s53, s56
	s_mul_hi_u32 s43, s53, s57
	s_add_co_u32 s2, s58, s37
	s_add_co_ci_u32 s2, s59, s1
	s_mul_i32 s56, s53, s57
	s_add_co_ci_u32 s57, s43, 0
	s_delay_alu instid0(SALU_CYCLE_1) | instskip(NEXT) | instid1(SALU_CYCLE_1)
	s_add_nc_u64 s[56:57], s[2:3], s[56:57]
	s_add_co_u32 s52, s52, s56
	s_cselect_b32 s1, -1, 0
	s_delay_alu instid0(SALU_CYCLE_1) | instskip(SKIP_1) | instid1(SALU_CYCLE_1)
	s_cmp_lg_u32 s1, 0
	s_add_co_ci_u32 s53, s53, s57
	s_mul_u64 s[54:55], s[54:55], s[52:53]
	s_delay_alu instid0(SALU_CYCLE_1)
	s_mul_hi_u32 s57, s52, s55
	s_mul_i32 s56, s52, s55
	s_mul_hi_u32 s2, s52, s54
	s_mul_i32 s37, s53, s54
	s_add_nc_u64 s[56:57], s[2:3], s[56:57]
	s_mul_hi_u32 s1, s53, s54
	s_mul_hi_u32 s43, s53, s55
	s_add_co_u32 s2, s56, s37
	s_add_co_ci_u32 s2, s57, s1
	s_mul_i32 s54, s53, s55
	s_add_co_ci_u32 s55, s43, 0
	s_delay_alu instid0(SALU_CYCLE_1) | instskip(NEXT) | instid1(SALU_CYCLE_1)
	s_add_nc_u64 s[54:55], s[2:3], s[54:55]
	s_add_co_u32 s52, s52, s54
	s_cselect_b32 s1, -1, 0
	v_mul_hi_u32 v18, v8, s52
	s_cmp_lg_u32 s1, 0
	s_add_co_ci_u32 s2, s53, s55
	s_and_b64 s[54:55], s[52:53], s[34:35]
	v_mul_u64_e32 v[12:13], s[2:3], v[8:9]
	v_mul_u64_e32 v[6:7], s[54:55], v[14:15]
	;; [unrolled: 1-line block ×3, first 2 shown]
	s_delay_alu instid0(VALU_DEP_3) | instskip(NEXT) | instid1(VALU_DEP_1)
	v_add_nc_u64_e32 v[12:13], v[18:19], v[12:13]
	v_add_co_u32 v3, vcc_lo, v12, v6
	s_delay_alu instid0(VALU_DEP_2) | instskip(NEXT) | instid1(VALU_DEP_4)
	v_add_co_ci_u32_e32 v18, vcc_lo, v13, v7, vcc_lo
	v_add_co_ci_u32_e32 v17, vcc_lo, 0, v17, vcc_lo
	s_delay_alu instid0(VALU_DEP_1) | instskip(NEXT) | instid1(VALU_DEP_1)
	v_add_nc_u64_e32 v[6:7], v[18:19], v[16:17]
	v_mul_u64_e32 v[12:13], s[40:41], v[6:7]
	s_delay_alu instid0(VALU_DEP_1) | instskip(NEXT) | instid1(VALU_DEP_2)
	v_sub_nc_u32_e32 v3, v14, v13
	v_sub_co_u32 v5, vcc_lo, v8, v12
	s_delay_alu instid0(VALU_DEP_1) | instskip(NEXT) | instid1(VALU_DEP_3)
	v_sub_co_ci_u32_e64 v11, null, v14, v13, vcc_lo
	v_subrev_co_ci_u32_e64 v3, null, s41, v3, vcc_lo
	s_delay_alu instid0(VALU_DEP_3) | instskip(SKIP_1) | instid1(VALU_DEP_3)
	v_sub_co_u32 v8, s1, v5, s40
	v_add_nc_u64_e32 v[12:13], 1, v[6:7]
	v_subrev_co_ci_u32_e64 v3, null, 0, v3, s1
	s_delay_alu instid0(VALU_DEP_3) | instskip(SKIP_1) | instid1(VALU_DEP_3)
	v_cmp_le_u32_e32 vcc_lo, s40, v8
	v_cndmask_b32_e64 v8, 0, -1, vcc_lo
	v_cmp_le_u32_e32 vcc_lo, s41, v3
	v_cndmask_b32_e64 v9, 0, -1, vcc_lo
	;; [unrolled: 2-line block ×4, first 2 shown]
	v_cmp_eq_u32_e32 vcc_lo, s41, v3
	v_cndmask_b32_e32 v3, v9, v8, vcc_lo
	v_cmp_eq_u32_e32 vcc_lo, s41, v11
	v_add_nc_u64_e32 v[8:9], 2, v[6:7]
	v_cndmask_b32_e32 v5, v14, v5, vcc_lo
	s_delay_alu instid0(VALU_DEP_4) | instskip(NEXT) | instid1(VALU_DEP_2)
	v_cmp_ne_u32_e32 vcc_lo, 0, v3
	v_cmp_ne_u32_e64 s1, 0, v5
	s_delay_alu instid0(VALU_DEP_4) | instskip(NEXT) | instid1(VALU_DEP_1)
	v_dual_cndmask_b32 v3, v13, v9, vcc_lo :: v_dual_cndmask_b32 v5, v12, v8, vcc_lo
	v_dual_cndmask_b32 v6, v6, v5, s1 :: v_dual_mov_b32 v5, v4
	s_delay_alu instid0(VALU_DEP_1) | instskip(NEXT) | instid1(VALU_DEP_1)
	v_dual_cndmask_b32 v3, v7, v3, s1 :: v_dual_bitop2_b32 v6, v6, v4 bitop3:0x14
	v_xor_b32_e32 v7, v3, v4
	s_delay_alu instid0(VALU_DEP_1)
	v_sub_nc_u64_e32 v[4:5], v[6:7], v[4:5]
.LBB10_6:                               ;   in Loop: Header=BB10_4 Depth=1
	s_and_not1_saveexec_b32 s1, s42
	s_cbranch_execz .LBB10_8
; %bb.7:                                ;   in Loop: Header=BB10_4 Depth=1
	s_sub_co_i32 s2, 0, s8
	s_delay_alu instid0(SALU_CYCLE_1) | instskip(NEXT) | instid1(VALU_DEP_1)
	v_mul_lo_u32 v3, s2, v10
	v_mul_hi_u32 v3, v10, v3
	s_delay_alu instid0(VALU_DEP_1) | instskip(NEXT) | instid1(VALU_DEP_1)
	v_add_nc_u32_e32 v3, v10, v3
	v_mul_hi_u32 v3, v0, v3
	s_delay_alu instid0(VALU_DEP_1) | instskip(NEXT) | instid1(VALU_DEP_1)
	v_mul_lo_u32 v4, v3, s8
	v_sub_nc_u32_e32 v4, v0, v4
	s_delay_alu instid0(VALU_DEP_1) | instskip(SKIP_1) | instid1(VALU_DEP_2)
	v_subrev_nc_u32_e32 v6, s8, v4
	v_cmp_le_u32_e32 vcc_lo, s8, v4
	v_dual_cndmask_b32 v4, v4, v6 :: v_dual_add_nc_u32 v5, 1, v3
	s_delay_alu instid0(VALU_DEP_1) | instskip(NEXT) | instid1(VALU_DEP_2)
	v_cndmask_b32_e32 v3, v3, v5, vcc_lo
	v_cmp_le_u32_e32 vcc_lo, s8, v4
	s_delay_alu instid0(VALU_DEP_2) | instskip(NEXT) | instid1(VALU_DEP_1)
	v_add_nc_u32_e32 v5, 1, v3
	v_dual_cndmask_b32 v4, v3, v5 :: v_dual_mov_b32 v5, v2
.LBB10_8:                               ;   in Loop: Header=BB10_4 Depth=1
	s_or_b32 exec_lo, exec_lo, s1
	s_delay_alu instid0(VALU_DEP_1) | instskip(SKIP_1) | instid1(VALU_DEP_1)
	v_or_b32_e32 v3, s25, v5
                                        ; implicit-def: $vgpr6_vgpr7
	s_mov_b32 s1, exec_lo
	v_cmpx_ne_u64_e32 0, v[2:3]
	s_xor_b32 s37, exec_lo, s1
	s_cbranch_execz .LBB10_10
; %bb.9:                                ;   in Loop: Header=BB10_4 Depth=1
	s_ashr_i32 s40, s25, 31
	v_dual_mov_b32 v13, v2 :: v_dual_ashrrev_i32 v6, 31, v5
	s_mov_b32 s41, s40
	s_delay_alu instid0(SALU_CYCLE_1) | instskip(NEXT) | instid1(VALU_DEP_1)
	s_add_nc_u64 s[42:43], s[24:25], s[40:41]
	v_mov_b32_e32 v7, v6
	s_xor_b64 s[42:43], s[42:43], s[40:41]
	s_delay_alu instid0(SALU_CYCLE_1)
	s_cvt_f32_u32 s1, s42
	s_cvt_f32_u32 s2, s43
	s_sub_nc_u64 s[54:55], 0, s[42:43]
	v_add_nc_u64_e32 v[8:9], v[4:5], v[6:7]
	v_mov_b32_e32 v17, v2
	s_fmamk_f32 s1, s2, 0x4f800000, s1
	s_delay_alu instid0(SALU_CYCLE_3) | instskip(NEXT) | instid1(VALU_DEP_2)
	v_s_rcp_f32 s1, s1
	v_xor_b32_e32 v12, v8, v6
	s_delay_alu instid0(VALU_DEP_3) | instskip(SKIP_1) | instid1(TRANS32_DEP_1)
	v_dual_mov_b32 v21, v2 :: v_dual_bitop2_b32 v16, v9, v6 bitop3:0x14
	v_xor_b32_e32 v6, s40, v6
	s_mul_f32 s1, s1, 0x5f7ffffc
	s_delay_alu instid0(SALU_CYCLE_3) | instskip(NEXT) | instid1(SALU_CYCLE_3)
	s_mul_f32 s2, s1, 0x2f800000
	s_trunc_f32 s2, s2
	s_delay_alu instid0(SALU_CYCLE_3) | instskip(SKIP_1) | instid1(SALU_CYCLE_2)
	s_fmamk_f32 s1, s2, 0xcf800000, s1
	s_cvt_u32_f32 s53, s2
	s_cvt_u32_f32 s52, s1
	s_delay_alu instid0(SALU_CYCLE_3) | instskip(NEXT) | instid1(SALU_CYCLE_1)
	s_mul_u64 s[56:57], s[54:55], s[52:53]
	s_mul_hi_u32 s59, s52, s57
	s_mul_i32 s58, s52, s57
	s_mul_hi_u32 s2, s52, s56
	s_mul_i32 s41, s53, s56
	s_add_nc_u64 s[58:59], s[2:3], s[58:59]
	s_mul_hi_u32 s1, s53, s56
	s_mul_hi_u32 s60, s53, s57
	s_add_co_u32 s2, s58, s41
	s_add_co_ci_u32 s2, s59, s1
	s_mul_i32 s56, s53, s57
	s_add_co_ci_u32 s57, s60, 0
	s_delay_alu instid0(SALU_CYCLE_1) | instskip(NEXT) | instid1(SALU_CYCLE_1)
	s_add_nc_u64 s[56:57], s[2:3], s[56:57]
	s_add_co_u32 s52, s52, s56
	s_cselect_b32 s1, -1, 0
	s_delay_alu instid0(SALU_CYCLE_1) | instskip(SKIP_1) | instid1(SALU_CYCLE_1)
	s_cmp_lg_u32 s1, 0
	s_add_co_ci_u32 s53, s53, s57
	s_mul_u64 s[54:55], s[54:55], s[52:53]
	s_delay_alu instid0(SALU_CYCLE_1)
	s_mul_hi_u32 s57, s52, s55
	s_mul_i32 s56, s52, s55
	s_mul_hi_u32 s2, s52, s54
	s_mul_i32 s41, s53, s54
	s_add_nc_u64 s[56:57], s[2:3], s[56:57]
	s_mul_hi_u32 s1, s53, s54
	s_mul_hi_u32 s58, s53, s55
	s_add_co_u32 s2, s56, s41
	s_add_co_ci_u32 s2, s57, s1
	s_mul_i32 s54, s53, s55
	s_add_co_ci_u32 s55, s58, 0
	s_delay_alu instid0(SALU_CYCLE_1) | instskip(NEXT) | instid1(SALU_CYCLE_1)
	s_add_nc_u64 s[54:55], s[2:3], s[54:55]
	s_add_co_u32 s52, s52, s54
	s_cselect_b32 s1, -1, 0
	v_mul_hi_u32 v20, v12, s52
	s_cmp_lg_u32 s1, 0
	s_add_co_ci_u32 s2, s53, s55
	s_and_b64 s[54:55], s[52:53], s[34:35]
	v_mul_u64_e32 v[14:15], s[2:3], v[12:13]
	v_mul_u64_e32 v[8:9], s[54:55], v[16:17]
	;; [unrolled: 1-line block ×3, first 2 shown]
	s_delay_alu instid0(VALU_DEP_3) | instskip(NEXT) | instid1(VALU_DEP_1)
	v_add_nc_u64_e32 v[14:15], v[20:21], v[14:15]
	v_add_co_u32 v3, vcc_lo, v14, v8
	s_delay_alu instid0(VALU_DEP_2) | instskip(NEXT) | instid1(VALU_DEP_4)
	v_add_co_ci_u32_e32 v20, vcc_lo, v15, v9, vcc_lo
	v_add_co_ci_u32_e32 v19, vcc_lo, 0, v19, vcc_lo
	s_delay_alu instid0(VALU_DEP_1) | instskip(NEXT) | instid1(VALU_DEP_1)
	v_add_nc_u64_e32 v[8:9], v[20:21], v[18:19]
	v_mul_u64_e32 v[14:15], s[42:43], v[8:9]
	s_delay_alu instid0(VALU_DEP_1) | instskip(NEXT) | instid1(VALU_DEP_2)
	v_sub_nc_u32_e32 v3, v16, v15
	v_sub_co_u32 v5, vcc_lo, v12, v14
	s_delay_alu instid0(VALU_DEP_1) | instskip(NEXT) | instid1(VALU_DEP_3)
	v_sub_co_ci_u32_e64 v11, null, v16, v15, vcc_lo
	v_subrev_co_ci_u32_e64 v3, null, s43, v3, vcc_lo
	s_delay_alu instid0(VALU_DEP_3) | instskip(SKIP_1) | instid1(VALU_DEP_3)
	v_sub_co_u32 v7, s1, v5, s42
	v_add_nc_u64_e32 v[14:15], 1, v[8:9]
	v_subrev_co_ci_u32_e64 v3, null, 0, v3, s1
	s_delay_alu instid0(VALU_DEP_3) | instskip(SKIP_1) | instid1(VALU_DEP_3)
	v_cmp_le_u32_e32 vcc_lo, s42, v7
	v_cndmask_b32_e64 v7, 0, -1, vcc_lo
	v_cmp_le_u32_e32 vcc_lo, s43, v3
	v_cndmask_b32_e64 v12, 0, -1, vcc_lo
	;; [unrolled: 2-line block ×4, first 2 shown]
	v_cmp_eq_u32_e32 vcc_lo, s43, v3
	v_cndmask_b32_e32 v3, v12, v7, vcc_lo
	v_cmp_eq_u32_e32 vcc_lo, s43, v11
	v_add_nc_u64_e32 v[12:13], 2, v[8:9]
	v_dual_mov_b32 v7, v6 :: v_dual_cndmask_b32 v5, v16, v5, vcc_lo
	s_delay_alu instid0(VALU_DEP_4) | instskip(NEXT) | instid1(VALU_DEP_2)
	v_cmp_ne_u32_e32 vcc_lo, 0, v3
	v_cmp_ne_u32_e64 s1, 0, v5
	s_delay_alu instid0(VALU_DEP_4) | instskip(NEXT) | instid1(VALU_DEP_1)
	v_dual_cndmask_b32 v3, v15, v13, vcc_lo :: v_dual_cndmask_b32 v5, v14, v12, vcc_lo
	v_dual_cndmask_b32 v3, v9, v3, s1 :: v_dual_cndmask_b32 v5, v8, v5, s1
	s_delay_alu instid0(VALU_DEP_1) | instskip(NEXT) | instid1(VALU_DEP_2)
	v_xor_b32_e32 v9, v3, v6
	v_xor_b32_e32 v8, v5, v6
	s_delay_alu instid0(VALU_DEP_1)
	v_sub_nc_u64_e32 v[6:7], v[8:9], v[6:7]
.LBB10_10:                              ;   in Loop: Header=BB10_4 Depth=1
	s_and_not1_saveexec_b32 s1, s37
	s_cbranch_execz .LBB10_12
; %bb.11:                               ;   in Loop: Header=BB10_4 Depth=1
	v_cvt_f32_u32_e32 v3, s24
	s_sub_co_i32 s2, 0, s24
	s_delay_alu instid0(VALU_DEP_1) | instskip(SKIP_1) | instid1(TRANS32_DEP_1)
	v_rcp_iflag_f32_e32 v3, v3
	v_nop
	v_mul_f32_e32 v3, 0x4f7ffffe, v3
	s_delay_alu instid0(VALU_DEP_1) | instskip(NEXT) | instid1(VALU_DEP_1)
	v_cvt_u32_f32_e32 v3, v3
	v_mul_lo_u32 v5, s2, v3
	s_delay_alu instid0(VALU_DEP_1) | instskip(NEXT) | instid1(VALU_DEP_1)
	v_mul_hi_u32 v5, v3, v5
	v_add_nc_u32_e32 v3, v3, v5
	s_delay_alu instid0(VALU_DEP_1) | instskip(NEXT) | instid1(VALU_DEP_1)
	v_mul_hi_u32 v3, v4, v3
	v_mul_lo_u32 v5, v3, s24
	s_delay_alu instid0(VALU_DEP_1) | instskip(NEXT) | instid1(VALU_DEP_1)
	v_dual_add_nc_u32 v6, 1, v3 :: v_dual_sub_nc_u32 v5, v4, v5
	v_subrev_nc_u32_e32 v7, s24, v5
	v_cmp_le_u32_e32 vcc_lo, s24, v5
	s_delay_alu instid0(VALU_DEP_2) | instskip(NEXT) | instid1(VALU_DEP_4)
	v_dual_cndmask_b32 v5, v5, v7, vcc_lo :: v_dual_mov_b32 v7, v2
	v_cndmask_b32_e32 v3, v3, v6, vcc_lo
	s_delay_alu instid0(VALU_DEP_2) | instskip(NEXT) | instid1(VALU_DEP_2)
	v_cmp_le_u32_e32 vcc_lo, s24, v5
	v_add_nc_u32_e32 v6, 1, v3
	s_delay_alu instid0(VALU_DEP_1)
	v_cndmask_b32_e32 v6, v3, v6, vcc_lo
.LBB10_12:                              ;   in Loop: Header=BB10_4 Depth=1
	s_or_b32 exec_lo, exec_lo, s1
	s_delay_alu instid0(VALU_DEP_1) | instskip(SKIP_1) | instid1(VALU_DEP_1)
	v_or_b32_e32 v3, s11, v7
                                        ; implicit-def: $vgpr8_vgpr9
	s_mov_b32 s1, exec_lo
	v_cmpx_ne_u64_e32 0, v[2:3]
	s_xor_b32 s37, exec_lo, s1
	s_cbranch_execz .LBB10_14
; %bb.13:                               ;   in Loop: Header=BB10_4 Depth=1
	s_ashr_i32 s40, s11, 31
	v_dual_mov_b32 v15, v2 :: v_dual_ashrrev_i32 v8, 31, v7
	s_mov_b32 s41, s40
	v_mov_b32_e32 v19, v2
	s_add_nc_u64 s[42:43], s[10:11], s[40:41]
	s_delay_alu instid0(VALU_DEP_2)
	v_mov_b32_e32 v9, v8
	s_xor_b64 s[42:43], s[42:43], s[40:41]
	v_mov_b32_e32 v23, v2
	s_cvt_f32_u32 s1, s42
	s_cvt_f32_u32 s2, s43
	s_sub_nc_u64 s[54:55], 0, s[42:43]
	v_add_nc_u64_e32 v[12:13], v[6:7], v[8:9]
	s_delay_alu instid0(SALU_CYCLE_1) | instskip(NEXT) | instid1(SALU_CYCLE_3)
	s_fmamk_f32 s1, s2, 0x4f800000, s1
	v_s_rcp_f32 s1, s1
	s_delay_alu instid0(VALU_DEP_1) | instskip(NEXT) | instid1(VALU_DEP_2)
	v_xor_b32_e32 v14, v12, v8
	v_xor_b32_e32 v18, v13, v8
	s_delay_alu instid0(TRANS32_DEP_1) | instskip(NEXT) | instid1(SALU_CYCLE_3)
	s_mul_f32 s1, s1, 0x5f7ffffc
	s_mul_f32 s2, s1, 0x2f800000
	s_delay_alu instid0(SALU_CYCLE_3) | instskip(NEXT) | instid1(SALU_CYCLE_3)
	s_trunc_f32 s2, s2
	s_fmamk_f32 s1, s2, 0xcf800000, s1
	s_cvt_u32_f32 s53, s2
	s_delay_alu instid0(SALU_CYCLE_2) | instskip(NEXT) | instid1(SALU_CYCLE_3)
	s_cvt_u32_f32 s52, s1
	s_mul_u64 s[56:57], s[54:55], s[52:53]
	s_delay_alu instid0(SALU_CYCLE_1)
	s_mul_hi_u32 s59, s52, s57
	s_mul_i32 s58, s52, s57
	s_mul_hi_u32 s2, s52, s56
	s_mul_i32 s41, s53, s56
	s_add_nc_u64 s[58:59], s[2:3], s[58:59]
	s_mul_hi_u32 s1, s53, s56
	s_mul_hi_u32 s60, s53, s57
	s_add_co_u32 s2, s58, s41
	s_add_co_ci_u32 s2, s59, s1
	s_mul_i32 s56, s53, s57
	s_add_co_ci_u32 s57, s60, 0
	s_delay_alu instid0(SALU_CYCLE_1) | instskip(NEXT) | instid1(SALU_CYCLE_1)
	s_add_nc_u64 s[56:57], s[2:3], s[56:57]
	s_add_co_u32 s52, s52, s56
	s_cselect_b32 s1, -1, 0
	s_delay_alu instid0(SALU_CYCLE_1) | instskip(SKIP_1) | instid1(SALU_CYCLE_1)
	s_cmp_lg_u32 s1, 0
	s_add_co_ci_u32 s53, s53, s57
	s_mul_u64 s[54:55], s[54:55], s[52:53]
	s_delay_alu instid0(SALU_CYCLE_1)
	s_mul_hi_u32 s57, s52, s55
	s_mul_i32 s56, s52, s55
	s_mul_hi_u32 s2, s52, s54
	s_mul_i32 s41, s53, s54
	s_add_nc_u64 s[56:57], s[2:3], s[56:57]
	s_mul_hi_u32 s1, s53, s54
	s_mul_hi_u32 s58, s53, s55
	s_add_co_u32 s2, s56, s41
	s_add_co_ci_u32 s2, s57, s1
	s_mul_i32 s54, s53, s55
	s_add_co_ci_u32 s55, s58, 0
	s_delay_alu instid0(SALU_CYCLE_1) | instskip(NEXT) | instid1(SALU_CYCLE_1)
	s_add_nc_u64 s[54:55], s[2:3], s[54:55]
	s_add_co_u32 s52, s52, s54
	s_cselect_b32 s1, -1, 0
	v_mul_hi_u32 v22, v14, s52
	s_cmp_lg_u32 s1, 0
	s_add_co_ci_u32 s2, s53, s55
	s_and_b64 s[54:55], s[52:53], s[34:35]
	v_mul_u64_e32 v[16:17], s[2:3], v[14:15]
	v_mul_u64_e32 v[12:13], s[54:55], v[18:19]
	;; [unrolled: 1-line block ×3, first 2 shown]
	s_delay_alu instid0(VALU_DEP_3) | instskip(NEXT) | instid1(VALU_DEP_1)
	v_add_nc_u64_e32 v[16:17], v[22:23], v[16:17]
	v_add_co_u32 v3, vcc_lo, v16, v12
	s_delay_alu instid0(VALU_DEP_2) | instskip(NEXT) | instid1(VALU_DEP_4)
	v_add_co_ci_u32_e32 v22, vcc_lo, v17, v13, vcc_lo
	v_add_co_ci_u32_e32 v21, vcc_lo, 0, v21, vcc_lo
	s_delay_alu instid0(VALU_DEP_1) | instskip(NEXT) | instid1(VALU_DEP_1)
	v_add_nc_u64_e32 v[12:13], v[22:23], v[20:21]
	v_mul_u64_e32 v[16:17], s[42:43], v[12:13]
	s_delay_alu instid0(VALU_DEP_1) | instskip(SKIP_1) | instid1(VALU_DEP_3)
	v_sub_co_u32 v5, vcc_lo, v14, v16
	v_add_nc_u64_e32 v[14:15], 2, v[12:13]
	v_sub_nc_u32_e32 v3, v18, v17
	v_sub_co_ci_u32_e64 v9, null, v18, v17, vcc_lo
	s_delay_alu instid0(VALU_DEP_4) | instskip(NEXT) | instid1(VALU_DEP_3)
	v_sub_co_u32 v7, s1, v5, s42
	v_subrev_co_ci_u32_e64 v3, null, s43, v3, vcc_lo
	v_add_nc_u64_e32 v[16:17], 1, v[12:13]
	s_delay_alu instid0(VALU_DEP_3) | instskip(NEXT) | instid1(VALU_DEP_3)
	v_cmp_le_u32_e32 vcc_lo, s42, v7
	v_subrev_co_ci_u32_e64 v3, null, 0, v3, s1
	v_cndmask_b32_e64 v7, 0, -1, vcc_lo
	s_delay_alu instid0(VALU_DEP_2)
	v_cmp_le_u32_e32 vcc_lo, s43, v3
	v_cndmask_b32_e64 v11, 0, -1, vcc_lo
	v_cmp_le_u32_e32 vcc_lo, s42, v5
	v_cndmask_b32_e64 v5, 0, -1, vcc_lo
	;; [unrolled: 2-line block ×3, first 2 shown]
	v_cmp_eq_u32_e32 vcc_lo, s43, v3
	v_cndmask_b32_e32 v3, v11, v7, vcc_lo
	v_cmp_eq_u32_e32 vcc_lo, s43, v9
	s_delay_alu instid0(VALU_DEP_4) | instskip(NEXT) | instid1(VALU_DEP_3)
	v_cndmask_b32_e32 v5, v18, v5, vcc_lo
	v_cmp_ne_u32_e32 vcc_lo, 0, v3
	v_cndmask_b32_e32 v3, v17, v15, vcc_lo
	s_delay_alu instid0(VALU_DEP_3) | instskip(SKIP_1) | instid1(VALU_DEP_1)
	v_cmp_ne_u32_e64 s1, 0, v5
	v_dual_cndmask_b32 v5, v16, v14, vcc_lo :: v_dual_bitop2_b32 v8, s40, v8 bitop3:0x14
	v_dual_cndmask_b32 v3, v13, v3, s1 :: v_dual_cndmask_b32 v5, v12, v5, s1
	s_delay_alu instid0(VALU_DEP_1) | instskip(NEXT) | instid1(VALU_DEP_2)
	v_dual_mov_b32 v9, v8 :: v_dual_bitop2_b32 v13, v3, v8 bitop3:0x14
	v_xor_b32_e32 v12, v5, v8
	s_delay_alu instid0(VALU_DEP_1)
	v_sub_nc_u64_e32 v[8:9], v[12:13], v[8:9]
.LBB10_14:                              ;   in Loop: Header=BB10_4 Depth=1
	s_and_not1_saveexec_b32 s1, s37
	s_cbranch_execz .LBB10_16
; %bb.15:                               ;   in Loop: Header=BB10_4 Depth=1
	v_cvt_f32_u32_e32 v3, s10
	s_sub_co_i32 s2, 0, s10
	s_delay_alu instid0(VALU_DEP_1) | instskip(SKIP_1) | instid1(TRANS32_DEP_1)
	v_rcp_iflag_f32_e32 v3, v3
	v_nop
	v_mul_f32_e32 v3, 0x4f7ffffe, v3
	s_delay_alu instid0(VALU_DEP_1) | instskip(NEXT) | instid1(VALU_DEP_1)
	v_cvt_u32_f32_e32 v3, v3
	v_mul_lo_u32 v5, s2, v3
	s_delay_alu instid0(VALU_DEP_1) | instskip(NEXT) | instid1(VALU_DEP_1)
	v_mul_hi_u32 v5, v3, v5
	v_add_nc_u32_e32 v3, v3, v5
	s_delay_alu instid0(VALU_DEP_1) | instskip(NEXT) | instid1(VALU_DEP_1)
	v_mul_hi_u32 v3, v6, v3
	v_mul_lo_u32 v5, v3, s10
	s_delay_alu instid0(VALU_DEP_1) | instskip(NEXT) | instid1(VALU_DEP_1)
	v_sub_nc_u32_e32 v5, v6, v5
	v_subrev_nc_u32_e32 v8, s10, v5
	v_cmp_le_u32_e32 vcc_lo, s10, v5
	s_delay_alu instid0(VALU_DEP_2) | instskip(NEXT) | instid1(VALU_DEP_1)
	v_dual_add_nc_u32 v7, 1, v3 :: v_dual_cndmask_b32 v5, v5, v8, vcc_lo
	v_cndmask_b32_e32 v3, v3, v7, vcc_lo
	s_delay_alu instid0(VALU_DEP_2) | instskip(NEXT) | instid1(VALU_DEP_2)
	v_cmp_le_u32_e32 vcc_lo, s10, v5
	v_add_nc_u32_e32 v7, 1, v3
	s_delay_alu instid0(VALU_DEP_1)
	v_cndmask_b32_e32 v8, v3, v7, vcc_lo
.LBB10_16:                              ;   in Loop: Header=BB10_4 Depth=1
	s_or_b32 exec_lo, exec_lo, s1
	s_delay_alu instid0(VALU_DEP_1) | instskip(SKIP_2) | instid1(VALU_DEP_2)
	v_mul_lo_u32 v3, v8, s10
	v_mov_b32_e32 v12, 0
	s_mov_b32 s1, exec_lo
	v_dual_mov_b32 v11, 0 :: v_dual_sub_nc_u32 v5, v6, v3
	s_delay_alu instid0(VALU_DEP_1)
	v_cmpx_le_i32_e64 s14, v5
	s_cbranch_execz .LBB10_18
; %bb.17:                               ;   in Loop: Header=BB10_4 Depth=1
	v_subrev_nc_u32_e32 v12, s14, v5
	v_mov_b32_e32 v13, v2
	s_delay_alu instid0(VALU_DEP_1) | instskip(NEXT) | instid1(VALU_DEP_1)
	v_mul_u64_e32 v[14:15], s[28:29], v[12:13]
	v_mul_lo_u32 v3, v15, s33
	s_delay_alu instid0(VALU_DEP_1) | instskip(NEXT) | instid1(VALU_DEP_1)
	v_sub_nc_u32_e32 v3, v12, v3
	v_subrev_nc_u32_e32 v9, s33, v3
	v_cmp_le_u32_e32 vcc_lo, s33, v3
	s_delay_alu instid0(VALU_DEP_2) | instskip(NEXT) | instid1(VALU_DEP_1)
	v_dual_add_nc_u32 v7, 1, v15 :: v_dual_cndmask_b32 v3, v3, v9, vcc_lo
	v_cndmask_b32_e32 v7, v15, v7, vcc_lo
	s_delay_alu instid0(VALU_DEP_2) | instskip(NEXT) | instid1(VALU_DEP_2)
	v_cmp_le_u32_e32 vcc_lo, s33, v3
	v_add_nc_u32_e32 v9, 1, v7
	s_delay_alu instid0(VALU_DEP_1) | instskip(NEXT) | instid1(VALU_DEP_1)
	v_cndmask_b32_e32 v3, v7, v9, vcc_lo
	v_xor_b32_e32 v3, s47, v3
	s_delay_alu instid0(VALU_DEP_1) | instskip(NEXT) | instid1(VALU_DEP_1)
	v_subrev_nc_u32_e32 v3, s47, v3
	v_add_nc_u32_e32 v12, 1, v3
.LBB10_18:                              ;   in Loop: Header=BB10_4 Depth=1
	s_or_b32 exec_lo, exec_lo, s1
	v_mul_lo_u32 v3, v6, s24
	s_mov_b32 s1, exec_lo
	s_delay_alu instid0(VALU_DEP_1) | instskip(NEXT) | instid1(VALU_DEP_1)
	v_sub_nc_u32_e32 v3, v4, v3
	v_cmpx_le_i32_e64 s15, v3
	s_cbranch_execz .LBB10_20
; %bb.19:                               ;   in Loop: Header=BB10_4 Depth=1
	v_subrev_nc_u32_e32 v6, s15, v3
	v_mov_b32_e32 v7, v2
	s_delay_alu instid0(VALU_DEP_1) | instskip(NEXT) | instid1(VALU_DEP_1)
	v_mul_u64_e32 v[14:15], s[30:31], v[6:7]
	v_mul_lo_u32 v7, v15, s44
	s_delay_alu instid0(VALU_DEP_1) | instskip(NEXT) | instid1(VALU_DEP_1)
	v_sub_nc_u32_e32 v6, v6, v7
	v_cmp_le_u32_e32 vcc_lo, s44, v6
	v_add_nc_u32_e32 v7, 1, v15
	s_delay_alu instid0(VALU_DEP_1) | instskip(SKIP_1) | instid1(VALU_DEP_1)
	v_cndmask_b32_e32 v7, v15, v7, vcc_lo
	v_subrev_nc_u32_e32 v9, s44, v6
	v_dual_cndmask_b32 v6, v6, v9 :: v_dual_add_nc_u32 v9, 1, v7
	s_delay_alu instid0(VALU_DEP_1) | instskip(NEXT) | instid1(VALU_DEP_2)
	v_cmp_le_u32_e32 vcc_lo, s44, v6
	v_cndmask_b32_e32 v6, v7, v9, vcc_lo
	s_delay_alu instid0(VALU_DEP_1) | instskip(NEXT) | instid1(VALU_DEP_1)
	v_xor_b32_e32 v6, s48, v6
	v_subrev_nc_u32_e32 v6, s48, v6
	s_delay_alu instid0(VALU_DEP_1)
	v_add_nc_u32_e32 v11, 1, v6
.LBB10_20:                              ;   in Loop: Header=BB10_4 Depth=1
	s_or_b32 exec_lo, exec_lo, s1
	v_dual_mov_b32 v7, v2 :: v_dual_sub_nc_u32 v6, 0, v5
	s_mov_b32 s37, exec_lo
	s_delay_alu instid0(VALU_DEP_1) | instskip(NEXT) | instid1(VALU_DEP_1)
	v_max_i32_e32 v6, v5, v6
	v_mul_u64_e32 v[14:15], s[28:29], v[6:7]
	s_delay_alu instid0(VALU_DEP_1) | instskip(NEXT) | instid1(VALU_DEP_1)
	v_mul_lo_u32 v7, v15, s33
	v_sub_nc_u32_e32 v6, v6, v7
	v_add_nc_u32_e32 v7, 1, v15
	s_delay_alu instid0(VALU_DEP_2) | instskip(NEXT) | instid1(VALU_DEP_2)
	v_cmp_le_u32_e32 vcc_lo, s33, v6
	v_cndmask_b32_e32 v7, v15, v7, vcc_lo
	v_subrev_nc_u32_e32 v9, s33, v6
	v_ashrrev_i32_e32 v5, 31, v5
	s_delay_alu instid0(VALU_DEP_2) | instskip(NEXT) | instid1(VALU_DEP_2)
	v_dual_cndmask_b32 v6, v6, v9 :: v_dual_add_nc_u32 v9, 1, v7
	v_xor_b32_e32 v5, s47, v5
	s_delay_alu instid0(VALU_DEP_2) | instskip(NEXT) | instid1(VALU_DEP_3)
	v_cmp_le_u32_e32 vcc_lo, s33, v6
	v_cndmask_b32_e32 v6, v7, v9, vcc_lo
	s_delay_alu instid0(VALU_DEP_1) | instskip(NEXT) | instid1(VALU_DEP_1)
	v_xor_b32_e32 v6, v6, v5
	v_sub_nc_u32_e32 v5, v6, v5
	v_mov_b64_e32 v[6:7], 0
	s_delay_alu instid0(VALU_DEP_2) | instskip(NEXT) | instid1(VALU_DEP_1)
	v_add_min_i32_e64 v13, v5, 1, s12
	v_cmpx_lt_i32_e64 v12, v13
	s_cbranch_execz .LBB10_3
; %bb.21:                               ;   in Loop: Header=BB10_4 Depth=1
	v_dual_sub_nc_u32 v5, 0, v3 :: v_dual_mov_b32 v7, v2
	v_mul_lo_u32 v4, v4, s8
	s_mov_b32 s40, 0
	s_delay_alu instid0(VALU_DEP_2) | instskip(SKIP_1) | instid1(VALU_DEP_2)
	v_dual_ashrrev_i32 v9, 31, v8 :: v_dual_max_i32 v6, v3, v5
	v_ashrrev_i32_e32 v3, 31, v3
	v_mul_u64_e32 v[8:9], s[38:39], v[8:9]
	s_delay_alu instid0(VALU_DEP_3) | instskip(NEXT) | instid1(VALU_DEP_3)
	v_mul_u64_e32 v[14:15], s[30:31], v[6:7]
	v_xor_b32_e32 v14, s48, v3
	s_delay_alu instid0(VALU_DEP_3) | instskip(NEXT) | instid1(VALU_DEP_3)
	v_lshl_add_u64 v[16:17], v[8:9], 3, s[6:7]
	v_mul_lo_u32 v5, v15, s44
	s_delay_alu instid0(VALU_DEP_1) | instskip(NEXT) | instid1(VALU_DEP_1)
	v_dual_sub_nc_u32 v5, v6, v5 :: v_dual_add_nc_u32 v6, 1, v15
	v_subrev_nc_u32_e32 v7, s44, v5
	v_cmp_le_u32_e32 vcc_lo, s44, v5
	s_delay_alu instid0(VALU_DEP_2) | instskip(SKIP_1) | instid1(VALU_DEP_2)
	v_dual_cndmask_b32 v6, v15, v6 :: v_dual_cndmask_b32 v5, v5, v7
	v_mul_lo_u32 v15, s17, v11
	v_add_nc_u32_e32 v7, 1, v6
	s_delay_alu instid0(VALU_DEP_3) | instskip(NEXT) | instid1(VALU_DEP_2)
	v_cmp_le_u32_e32 vcc_lo, s44, v5
	v_cndmask_b32_e32 v3, v6, v7, vcc_lo
	s_delay_alu instid0(VALU_DEP_1) | instskip(NEXT) | instid1(VALU_DEP_1)
	v_dual_add_nc_u32 v9, s49, v15 :: v_dual_bitop2_b32 v5, v3, v14 bitop3:0x14
	v_dual_sub_nc_u32 v3, v0, v4 :: v_dual_sub_nc_u32 v6, v5, v14
	s_delay_alu instid0(VALU_DEP_1) | instskip(SKIP_2) | instid1(VALU_DEP_4)
	v_ashrrev_i64 v[4:5], 29, v[2:3]
	v_mul_lo_u32 v3, s13, v12
	v_dual_add_nc_u32 v14, s50, v15 :: v_dual_sub_nc_u32 v15, s19, v15
	v_add_min_i32_e64 v8, v6, 1, s13
	v_mov_b64_e32 v[6:7], 0
	v_add_nc_u64_e32 v[4:5], v[16:17], v[4:5]
	s_delay_alu instid0(VALU_DEP_3)
	v_cmp_lt_i32_e64 s1, v11, v8
	s_branch .LBB10_24
.LBB10_22:                              ;   in Loop: Header=BB10_24 Depth=2
	s_or_b32 exec_lo, exec_lo, s42
.LBB10_23:                              ;   in Loop: Header=BB10_24 Depth=2
	s_delay_alu instid0(SALU_CYCLE_1) | instskip(SKIP_1) | instid1(VALU_DEP_1)
	s_or_b32 exec_lo, exec_lo, s41
	v_dual_add_nc_u32 v12, 1, v12 :: v_dual_add_nc_u32 v3, s13, v3
	v_cmp_ge_i32_e32 vcc_lo, v12, v13
	s_or_b32 s40, vcc_lo, s40
	s_delay_alu instid0(SALU_CYCLE_1)
	s_and_not1_b32 exec_lo, exec_lo, s40
	s_cbranch_execz .LBB10_2
.LBB10_24:                              ;   Parent Loop BB10_4 Depth=1
                                        ; =>  This Loop Header: Depth=2
                                        ;       Child Loop BB10_27 Depth 3
	s_delay_alu instid0(VALU_DEP_1)
	s_and_saveexec_b32 s41, s1
	s_cbranch_execz .LBB10_23
; %bb.25:                               ;   in Loop: Header=BB10_24 Depth=2
	v_mul_lo_u32 v16, v12, s16
	s_mov_b32 s42, 0
	v_mov_b32_e32 v17, v14
	s_delay_alu instid0(VALU_DEP_2) | instskip(NEXT) | instid1(VALU_DEP_1)
	v_subrev_nc_u32_e32 v19, s18, v16
	v_dual_mov_b32 v16, v15 :: v_dual_max_i32 v21, 0, v19
	v_add_min_i32_e64 v20, v19, s14, s45
	s_delay_alu instid0(VALU_DEP_1) | instskip(SKIP_1) | instid1(VALU_DEP_1)
	v_dual_mov_b32 v18, v9 :: v_dual_sub_nc_u32 v19, v20, v19
	v_min_i32_e32 v22, s10, v20
	v_cmp_gt_i32_e64 s2, v22, v21
	v_dual_mov_b32 v21, v11 :: v_dual_sub_nc_u32 v20, v22, v21
	s_branch .LBB10_27
.LBB10_26:                              ;   in Loop: Header=BB10_27 Depth=3
	s_wait_xcnt 0x0
	s_or_b32 exec_lo, exec_lo, s43
	v_dual_add_nc_u32 v21, 1, v21 :: v_dual_add_nc_u32 v18, s17, v18
	v_add_nc_u32_e32 v17, s17, v17
	v_subrev_nc_u32_e32 v16, s17, v16
	s_delay_alu instid0(VALU_DEP_3) | instskip(SKIP_1) | instid1(SALU_CYCLE_1)
	v_cmp_ge_i32_e32 vcc_lo, v21, v8
	s_or_b32 s42, vcc_lo, s42
	s_and_not1_b32 exec_lo, exec_lo, s42
	s_cbranch_execz .LBB10_22
.LBB10_27:                              ;   Parent Loop BB10_4 Depth=1
                                        ;     Parent Loop BB10_24 Depth=2
                                        ; =>    This Inner Loop Header: Depth=3
	v_dual_add_nc_u32 v23, s15, v18 :: v_dual_max_i32 v22, 0, v18
	s_delay_alu instid0(VALU_DEP_1) | instskip(NEXT) | instid1(VALU_DEP_1)
	v_min3_i32 v23, v23, s46, s24
	v_cmp_gt_i32_e32 vcc_lo, v23, v22
	s_and_b32 s52, s2, vcc_lo
	s_delay_alu instid0(SALU_CYCLE_1)
	s_and_saveexec_b32 s43, s52
	s_cbranch_execz .LBB10_26
; %bb.28:                               ;   in Loop: Header=BB10_27 Depth=3
	v_dual_sub_nc_u32 v22, v23, v22 :: v_dual_min_i32 v26, s46, v17
	s_delay_alu instid0(VALU_DEP_1) | instskip(NEXT) | instid1(VALU_DEP_2)
	v_dual_add_nc_u32 v24, v3, v21 :: v_dual_add_nc_u32 v23, v26, v16
	v_mul_lo_u32 v22, v22, v20
	s_delay_alu instid0(VALU_DEP_2) | instskip(NEXT) | instid1(VALU_DEP_1)
	v_mul_lo_u32 v23, v23, v19
	v_dual_ashrrev_i32 v25, 31, v24 :: v_dual_cndmask_b32 v22, v22, v23, s0
	s_delay_alu instid0(VALU_DEP_1) | instskip(NEXT) | instid1(VALU_DEP_2)
	v_mul_u64_e32 v[24:25], s[8:9], v[24:25]
	v_cndmask_b32_e64 v22, v22, s22, s23
	s_delay_alu instid0(VALU_DEP_1) | instskip(NEXT) | instid1(VALU_DEP_3)
	v_cvt_f64_i32_e32 v[22:23], v22
	v_lshl_add_u64 v[24:25], v[24:25], 3, v[4:5]
	global_load_b64 v[24:25], v[24:25], off
	s_wait_loadcnt 0x0
	v_div_scale_f64 v[26:27], null, v[22:23], v[22:23], v[24:25]
	s_delay_alu instid0(VALU_DEP_1) | instskip(SKIP_1) | instid1(TRANS32_DEP_1)
	v_rcp_f64_e32 v[28:29], v[26:27]
	v_nop
	v_fma_f64 v[30:31], -v[26:27], v[28:29], 1.0
	s_delay_alu instid0(VALU_DEP_1) | instskip(NEXT) | instid1(VALU_DEP_1)
	v_fmac_f64_e32 v[28:29], v[28:29], v[30:31]
	v_fma_f64 v[30:31], -v[26:27], v[28:29], 1.0
	s_delay_alu instid0(VALU_DEP_1) | instskip(SKIP_1) | instid1(VALU_DEP_1)
	v_fmac_f64_e32 v[28:29], v[28:29], v[30:31]
	v_div_scale_f64 v[30:31], vcc_lo, v[24:25], v[22:23], v[24:25]
	v_mul_f64_e32 v[32:33], v[30:31], v[28:29]
	s_delay_alu instid0(VALU_DEP_1) | instskip(NEXT) | instid1(VALU_DEP_1)
	v_fma_f64 v[26:27], -v[26:27], v[32:33], v[30:31]
	v_div_fmas_f64 v[26:27], v[26:27], v[28:29], v[32:33]
	s_delay_alu instid0(VALU_DEP_1) | instskip(NEXT) | instid1(VALU_DEP_1)
	v_div_fixup_f64 v[22:23], v[26:27], v[22:23], v[24:25]
	v_add_f64_e32 v[6:7], v[6:7], v[22:23]
	s_branch .LBB10_26
.LBB10_29:
	s_endpgm
	.section	.rodata,"a",@progbits
	.p2align	6, 0x0
	.amdhsa_kernel _ZN2at6native12_GLOBAL__N_139avg_pool2d_backward_out_cuda_frame_nhwcIddlEEvT1_PKT_llliiiiiiiiPS4_ibb
		.amdhsa_group_segment_fixed_size 0
		.amdhsa_private_segment_fixed_size 0
		.amdhsa_kernarg_size 344
		.amdhsa_user_sgpr_count 2
		.amdhsa_user_sgpr_dispatch_ptr 0
		.amdhsa_user_sgpr_queue_ptr 0
		.amdhsa_user_sgpr_kernarg_segment_ptr 1
		.amdhsa_user_sgpr_dispatch_id 0
		.amdhsa_user_sgpr_kernarg_preload_length 0
		.amdhsa_user_sgpr_kernarg_preload_offset 0
		.amdhsa_user_sgpr_private_segment_size 0
		.amdhsa_wavefront_size32 1
		.amdhsa_uses_dynamic_stack 0
		.amdhsa_enable_private_segment 0
		.amdhsa_system_sgpr_workgroup_id_x 1
		.amdhsa_system_sgpr_workgroup_id_y 0
		.amdhsa_system_sgpr_workgroup_id_z 0
		.amdhsa_system_sgpr_workgroup_info 0
		.amdhsa_system_vgpr_workitem_id 0
		.amdhsa_next_free_vgpr 34
		.amdhsa_next_free_sgpr 61
		.amdhsa_named_barrier_count 0
		.amdhsa_reserve_vcc 1
		.amdhsa_float_round_mode_32 0
		.amdhsa_float_round_mode_16_64 0
		.amdhsa_float_denorm_mode_32 3
		.amdhsa_float_denorm_mode_16_64 3
		.amdhsa_fp16_overflow 0
		.amdhsa_memory_ordered 1
		.amdhsa_forward_progress 1
		.amdhsa_inst_pref_size 29
		.amdhsa_round_robin_scheduling 0
		.amdhsa_exception_fp_ieee_invalid_op 0
		.amdhsa_exception_fp_denorm_src 0
		.amdhsa_exception_fp_ieee_div_zero 0
		.amdhsa_exception_fp_ieee_overflow 0
		.amdhsa_exception_fp_ieee_underflow 0
		.amdhsa_exception_fp_ieee_inexact 0
		.amdhsa_exception_int_div_zero 0
	.end_amdhsa_kernel
	.section	.text._ZN2at6native12_GLOBAL__N_139avg_pool2d_backward_out_cuda_frame_nhwcIddlEEvT1_PKT_llliiiiiiiiPS4_ibb,"axG",@progbits,_ZN2at6native12_GLOBAL__N_139avg_pool2d_backward_out_cuda_frame_nhwcIddlEEvT1_PKT_llliiiiiiiiPS4_ibb,comdat
.Lfunc_end10:
	.size	_ZN2at6native12_GLOBAL__N_139avg_pool2d_backward_out_cuda_frame_nhwcIddlEEvT1_PKT_llliiiiiiiiPS4_ibb, .Lfunc_end10-_ZN2at6native12_GLOBAL__N_139avg_pool2d_backward_out_cuda_frame_nhwcIddlEEvT1_PKT_llliiiiiiiiPS4_ibb
                                        ; -- End function
	.set _ZN2at6native12_GLOBAL__N_139avg_pool2d_backward_out_cuda_frame_nhwcIddlEEvT1_PKT_llliiiiiiiiPS4_ibb.num_vgpr, 34
	.set _ZN2at6native12_GLOBAL__N_139avg_pool2d_backward_out_cuda_frame_nhwcIddlEEvT1_PKT_llliiiiiiiiPS4_ibb.num_agpr, 0
	.set _ZN2at6native12_GLOBAL__N_139avg_pool2d_backward_out_cuda_frame_nhwcIddlEEvT1_PKT_llliiiiiiiiPS4_ibb.numbered_sgpr, 61
	.set _ZN2at6native12_GLOBAL__N_139avg_pool2d_backward_out_cuda_frame_nhwcIddlEEvT1_PKT_llliiiiiiiiPS4_ibb.num_named_barrier, 0
	.set _ZN2at6native12_GLOBAL__N_139avg_pool2d_backward_out_cuda_frame_nhwcIddlEEvT1_PKT_llliiiiiiiiPS4_ibb.private_seg_size, 0
	.set _ZN2at6native12_GLOBAL__N_139avg_pool2d_backward_out_cuda_frame_nhwcIddlEEvT1_PKT_llliiiiiiiiPS4_ibb.uses_vcc, 1
	.set _ZN2at6native12_GLOBAL__N_139avg_pool2d_backward_out_cuda_frame_nhwcIddlEEvT1_PKT_llliiiiiiiiPS4_ibb.uses_flat_scratch, 0
	.set _ZN2at6native12_GLOBAL__N_139avg_pool2d_backward_out_cuda_frame_nhwcIddlEEvT1_PKT_llliiiiiiiiPS4_ibb.has_dyn_sized_stack, 0
	.set _ZN2at6native12_GLOBAL__N_139avg_pool2d_backward_out_cuda_frame_nhwcIddlEEvT1_PKT_llliiiiiiiiPS4_ibb.has_recursion, 0
	.set _ZN2at6native12_GLOBAL__N_139avg_pool2d_backward_out_cuda_frame_nhwcIddlEEvT1_PKT_llliiiiiiiiPS4_ibb.has_indirect_call, 0
	.section	.AMDGPU.csdata,"",@progbits
; Kernel info:
; codeLenInByte = 3700
; TotalNumSgprs: 63
; NumVgprs: 34
; ScratchSize: 0
; MemoryBound: 0
; FloatMode: 240
; IeeeMode: 1
; LDSByteSize: 0 bytes/workgroup (compile time only)
; SGPRBlocks: 0
; VGPRBlocks: 2
; NumSGPRsForWavesPerEU: 63
; NumVGPRsForWavesPerEU: 34
; NamedBarCnt: 0
; Occupancy: 16
; WaveLimiterHint : 0
; COMPUTE_PGM_RSRC2:SCRATCH_EN: 0
; COMPUTE_PGM_RSRC2:USER_SGPR: 2
; COMPUTE_PGM_RSRC2:TRAP_HANDLER: 0
; COMPUTE_PGM_RSRC2:TGID_X_EN: 1
; COMPUTE_PGM_RSRC2:TGID_Y_EN: 0
; COMPUTE_PGM_RSRC2:TGID_Z_EN: 0
; COMPUTE_PGM_RSRC2:TIDIG_COMP_CNT: 0
	.section	.text._ZN2at6native12_GLOBAL__N_134avg_pool2d_backward_out_cuda_frameIddlEEvT1_PKT_llllliiiiiiPS4_ibb,"axG",@progbits,_ZN2at6native12_GLOBAL__N_134avg_pool2d_backward_out_cuda_frameIddlEEvT1_PKT_llllliiiiiiPS4_ibb,comdat
	.globl	_ZN2at6native12_GLOBAL__N_134avg_pool2d_backward_out_cuda_frameIddlEEvT1_PKT_llllliiiiiiPS4_ibb ; -- Begin function _ZN2at6native12_GLOBAL__N_134avg_pool2d_backward_out_cuda_frameIddlEEvT1_PKT_llllliiiiiiPS4_ibb
	.p2align	8
	.type	_ZN2at6native12_GLOBAL__N_134avg_pool2d_backward_out_cuda_frameIddlEEvT1_PKT_llllliiiiiiPS4_ibb,@function
_ZN2at6native12_GLOBAL__N_134avg_pool2d_backward_out_cuda_frameIddlEEvT1_PKT_llllliiiiiiPS4_ibb: ; @_ZN2at6native12_GLOBAL__N_134avg_pool2d_backward_out_cuda_frameIddlEEvT1_PKT_llllliiiiiiPS4_ibb
; %bb.0:
	s_load_b32 s2, s[0:1], 0x6c
	s_bfe_u32 s4, ttmp6, 0x4000c
	v_mov_b32_e32 v2, 0
	s_add_co_i32 s13, s4, 1
	s_load_b256 s[4:11], s[0:1], 0x0
	s_and_b32 s3, ttmp6, 15
	s_mul_i32 s13, ttmp9, s13
	s_getreg_b32 s12, hwreg(HW_REG_IB_STS2, 6, 4)
	v_mov_b32_e32 v1, v2
	s_add_co_i32 s3, s3, s13
	s_wait_kmcnt 0x0
	s_and_b32 s2, s2, 0xffff
	s_cmp_eq_u32 s12, 0
	s_mov_b32 s12, exec_lo
	s_cselect_b32 s3, ttmp9, s3
	s_delay_alu instid0(SALU_CYCLE_1) | instskip(SKIP_1) | instid1(VALU_DEP_1)
	v_mad_nc_u64_u32 v[0:1], s2, s3, v[0:1]
	s_mov_b32 s3, 0
	v_cmpx_gt_i64_e64 s[4:5], v[0:1]
	s_cbranch_execz .LBB11_29
; %bb.1:
	s_clause 0x1
	s_load_b64 s[28:29], s[0:1], 0x58
	s_load_b256 s[12:19], s[0:1], 0x20
	s_wait_kmcnt 0x0
	s_add_nc_u64 s[18:19], s[0:1], 0x60
	s_load_b32 s30, s[0:1], 0x5c
	s_load_b32 s33, s[18:19], 0x0
	s_load_b256 s[20:27], s[0:1], 0x38
	s_wait_xcnt 0x0
	s_mov_b32 s19, s3
	s_mov_b32 s31, s3
	;; [unrolled: 1-line block ×3, first 2 shown]
	s_mov_b64 s[36:37], 0xffffffff
	s_mov_b32 s54, 0
	s_bitcmp1_b32 s29, 0
	v_cvt_f32_u32_e32 v3, s12
	s_cselect_b32 s0, -1, 0
	s_wait_kmcnt 0x0
	s_bitcmp1_b32 s30, 8
	s_mul_i32 s18, s33, s2
	s_cselect_b32 s29, -1, 0
	s_abs_i32 s33, s22
	s_abs_i32 s48, s23
	s_cvt_f32_u32 s1, s33
	s_cvt_f32_u32 s2, s48
	v_rcp_iflag_f32_e32 v3, v3
	s_sub_co_i32 s30, 0, s33
	v_rcp_iflag_f32_e32 v4, s1
	v_rcp_iflag_f32_e32 v5, s2
	s_sub_co_i32 s34, 0, s48
	s_add_co_i32 s49, s24, s10
	s_add_co_i32 s50, s25, s12
	v_mul_f32_e32 v3, 0x4f7ffffe, v3
	s_ashr_i32 s51, s22, 31
	v_readfirstlane_b32 s1, v4
	v_readfirstlane_b32 s2, v5
	s_ashr_i32 s52, s23, 31
	v_cvt_u32_f32_e32 v14, v3
	s_lshl_b64 s[38:39], s[14:15], 3
	s_mul_f32 s1, s1, 0x4f7ffffe
	s_mul_f32 s2, s2, 0x4f7ffffe
	s_lshl_b64 s[40:41], s[16:17], 3
	s_sub_co_i32 s15, 0, s25
	s_cvt_u32_f32 s1, s1
	s_cvt_u32_f32 s2, s2
	s_sub_co_i32 s53, s21, s25
	s_ashr_i32 s42, s13, 31
	s_mul_i32 s30, s30, s1
	s_mul_i32 s34, s34, s2
	s_mul_hi_u32 s30, s1, s30
	s_mul_hi_u32 s34, s2, s34
	s_add_co_i32 s30, s1, s30
	s_add_co_i32 s34, s2, s34
	s_branch .LBB11_4
.LBB11_2:                               ;   in Loop: Header=BB11_4 Depth=1
	s_or_b32 exec_lo, exec_lo, s44
.LBB11_3:                               ;   in Loop: Header=BB11_4 Depth=1
	s_delay_alu instid0(SALU_CYCLE_1)
	s_or_b32 exec_lo, exec_lo, s43
	v_lshl_add_u64 v[6:7], v[0:1], 3, s[26:27]
	v_add_nc_u64_e32 v[0:1], s[18:19], v[0:1]
	global_store_b64 v[6:7], v[4:5], off
	v_cmp_le_i64_e32 vcc_lo, s[4:5], v[0:1]
	s_or_b32 s54, vcc_lo, s54
	s_wait_xcnt 0x0
	s_and_not1_b32 exec_lo, exec_lo, s54
	s_cbranch_execz .LBB11_29
.LBB11_4:                               ; =>This Loop Header: Depth=1
                                        ;     Child Loop BB11_24 Depth 2
                                        ;       Child Loop BB11_27 Depth 3
	v_or_b32_e32 v3, s13, v1
                                        ; implicit-def: $vgpr4_vgpr5
	s_mov_b32 s1, exec_lo
	s_delay_alu instid0(VALU_DEP_1)
	v_cmpx_ne_u64_e32 0, v[2:3]
	s_xor_b32 s46, exec_lo, s1
	s_cbranch_execz .LBB11_6
; %bb.5:                                ;   in Loop: Header=BB11_4 Depth=1
	s_mov_b32 s43, s42
	v_dual_mov_b32 v9, v2 :: v_dual_ashrrev_i32 v4, 31, v1
	s_add_nc_u64 s[44:45], s[12:13], s[42:43]
	s_delay_alu instid0(SALU_CYCLE_1) | instskip(NEXT) | instid1(VALU_DEP_1)
	s_xor_b64 s[44:45], s[44:45], s[42:43]
	v_mov_b32_e32 v5, v4
	s_cvt_f32_u32 s1, s44
	s_cvt_f32_u32 s2, s45
	s_sub_nc_u64 s[58:59], 0, s[44:45]
	s_delay_alu instid0(VALU_DEP_1) | instskip(NEXT) | instid1(SALU_CYCLE_1)
	v_add_nc_u64_e32 v[6:7], v[0:1], v[4:5]
	s_fmamk_f32 s1, s2, 0x4f800000, s1
	v_mov_b32_e32 v13, v2
	s_delay_alu instid0(SALU_CYCLE_2) | instskip(NEXT) | instid1(VALU_DEP_2)
	v_s_rcp_f32 s1, s1
	v_xor_b32_e32 v8, v6, v4
	s_delay_alu instid0(VALU_DEP_3) | instskip(SKIP_1) | instid1(TRANS32_DEP_1)
	v_dual_mov_b32 v19, v2 :: v_dual_bitop2_b32 v12, v7, v4 bitop3:0x14
	v_xor_b32_e32 v4, s42, v4
	s_mul_f32 s1, s1, 0x5f7ffffc
	s_delay_alu instid0(SALU_CYCLE_3) | instskip(NEXT) | instid1(SALU_CYCLE_3)
	s_mul_f32 s2, s1, 0x2f800000
	s_trunc_f32 s2, s2
	s_delay_alu instid0(SALU_CYCLE_3) | instskip(SKIP_1) | instid1(SALU_CYCLE_2)
	s_fmamk_f32 s1, s2, 0xcf800000, s1
	s_cvt_u32_f32 s57, s2
	s_cvt_u32_f32 s56, s1
	s_delay_alu instid0(SALU_CYCLE_3) | instskip(NEXT) | instid1(SALU_CYCLE_1)
	s_mul_u64 s[60:61], s[58:59], s[56:57]
	s_mul_hi_u32 s63, s56, s61
	s_mul_i32 s62, s56, s61
	s_mul_hi_u32 s2, s56, s60
	s_mul_i32 s43, s57, s60
	s_add_nc_u64 s[62:63], s[2:3], s[62:63]
	s_mul_hi_u32 s1, s57, s60
	s_mul_hi_u32 s47, s57, s61
	s_add_co_u32 s2, s62, s43
	s_add_co_ci_u32 s2, s63, s1
	s_mul_i32 s60, s57, s61
	s_add_co_ci_u32 s61, s47, 0
	s_delay_alu instid0(SALU_CYCLE_1) | instskip(NEXT) | instid1(SALU_CYCLE_1)
	s_add_nc_u64 s[60:61], s[2:3], s[60:61]
	s_add_co_u32 s56, s56, s60
	s_cselect_b32 s1, -1, 0
	s_delay_alu instid0(SALU_CYCLE_1) | instskip(SKIP_1) | instid1(SALU_CYCLE_1)
	s_cmp_lg_u32 s1, 0
	s_add_co_ci_u32 s57, s57, s61
	s_mul_u64 s[58:59], s[58:59], s[56:57]
	s_delay_alu instid0(SALU_CYCLE_1)
	s_mul_hi_u32 s61, s56, s59
	s_mul_i32 s60, s56, s59
	s_mul_hi_u32 s2, s56, s58
	s_mul_i32 s43, s57, s58
	s_add_nc_u64 s[60:61], s[2:3], s[60:61]
	s_mul_hi_u32 s1, s57, s58
	s_mul_hi_u32 s47, s57, s59
	s_add_co_u32 s2, s60, s43
	s_add_co_ci_u32 s2, s61, s1
	s_mul_i32 s58, s57, s59
	s_add_co_ci_u32 s59, s47, 0
	s_delay_alu instid0(SALU_CYCLE_1) | instskip(NEXT) | instid1(SALU_CYCLE_1)
	s_add_nc_u64 s[58:59], s[2:3], s[58:59]
	s_add_co_u32 s56, s56, s58
	s_cselect_b32 s1, -1, 0
	v_mul_hi_u32 v18, v8, s56
	s_cmp_lg_u32 s1, 0
	s_add_co_ci_u32 s2, s57, s59
	s_and_b64 s[58:59], s[56:57], s[36:37]
	v_mul_u64_e32 v[10:11], s[2:3], v[8:9]
	v_mul_u64_e32 v[6:7], s[58:59], v[12:13]
	;; [unrolled: 1-line block ×3, first 2 shown]
	s_delay_alu instid0(VALU_DEP_3) | instskip(NEXT) | instid1(VALU_DEP_1)
	v_add_nc_u64_e32 v[10:11], v[18:19], v[10:11]
	v_add_co_u32 v3, vcc_lo, v10, v6
	s_delay_alu instid0(VALU_DEP_2) | instskip(NEXT) | instid1(VALU_DEP_4)
	v_add_co_ci_u32_e32 v18, vcc_lo, v11, v7, vcc_lo
	v_add_co_ci_u32_e32 v17, vcc_lo, 0, v17, vcc_lo
	s_delay_alu instid0(VALU_DEP_1) | instskip(NEXT) | instid1(VALU_DEP_1)
	v_add_nc_u64_e32 v[6:7], v[18:19], v[16:17]
	v_mul_u64_e32 v[10:11], s[44:45], v[6:7]
	s_delay_alu instid0(VALU_DEP_1) | instskip(NEXT) | instid1(VALU_DEP_2)
	v_sub_nc_u32_e32 v3, v12, v11
	v_sub_co_u32 v5, vcc_lo, v8, v10
	s_delay_alu instid0(VALU_DEP_1) | instskip(NEXT) | instid1(VALU_DEP_3)
	v_sub_co_ci_u32_e64 v12, null, v12, v11, vcc_lo
	v_subrev_co_ci_u32_e64 v3, null, s45, v3, vcc_lo
	s_delay_alu instid0(VALU_DEP_3) | instskip(SKIP_1) | instid1(VALU_DEP_3)
	v_sub_co_u32 v8, s1, v5, s44
	v_add_nc_u64_e32 v[10:11], 1, v[6:7]
	v_subrev_co_ci_u32_e64 v3, null, 0, v3, s1
	s_delay_alu instid0(VALU_DEP_3) | instskip(SKIP_1) | instid1(VALU_DEP_3)
	v_cmp_le_u32_e32 vcc_lo, s44, v8
	v_cndmask_b32_e64 v8, 0, -1, vcc_lo
	v_cmp_le_u32_e32 vcc_lo, s45, v3
	v_cndmask_b32_e64 v9, 0, -1, vcc_lo
	;; [unrolled: 2-line block ×4, first 2 shown]
	v_cmp_eq_u32_e32 vcc_lo, s45, v3
	v_cndmask_b32_e32 v3, v9, v8, vcc_lo
	v_cmp_eq_u32_e32 vcc_lo, s45, v12
	v_add_nc_u64_e32 v[8:9], 2, v[6:7]
	v_cndmask_b32_e32 v5, v13, v5, vcc_lo
	s_delay_alu instid0(VALU_DEP_4) | instskip(NEXT) | instid1(VALU_DEP_2)
	v_cmp_ne_u32_e32 vcc_lo, 0, v3
	v_cmp_ne_u32_e64 s1, 0, v5
	s_delay_alu instid0(VALU_DEP_4) | instskip(NEXT) | instid1(VALU_DEP_1)
	v_dual_cndmask_b32 v3, v11, v9, vcc_lo :: v_dual_cndmask_b32 v5, v10, v8, vcc_lo
	v_dual_cndmask_b32 v6, v6, v5, s1 :: v_dual_mov_b32 v5, v4
	s_delay_alu instid0(VALU_DEP_1) | instskip(NEXT) | instid1(VALU_DEP_1)
	v_dual_cndmask_b32 v3, v7, v3, s1 :: v_dual_bitop2_b32 v6, v6, v4 bitop3:0x14
	v_xor_b32_e32 v7, v3, v4
	s_delay_alu instid0(VALU_DEP_1)
	v_sub_nc_u64_e32 v[4:5], v[6:7], v[4:5]
.LBB11_6:                               ;   in Loop: Header=BB11_4 Depth=1
	s_and_not1_saveexec_b32 s1, s46
	s_cbranch_execz .LBB11_8
; %bb.7:                                ;   in Loop: Header=BB11_4 Depth=1
	s_sub_co_i32 s2, 0, s12
	s_delay_alu instid0(SALU_CYCLE_1) | instskip(NEXT) | instid1(VALU_DEP_1)
	v_mul_lo_u32 v3, s2, v14
	v_mul_hi_u32 v3, v14, v3
	s_delay_alu instid0(VALU_DEP_1) | instskip(NEXT) | instid1(VALU_DEP_1)
	v_add_nc_u32_e32 v3, v14, v3
	v_mul_hi_u32 v3, v0, v3
	s_delay_alu instid0(VALU_DEP_1) | instskip(NEXT) | instid1(VALU_DEP_1)
	v_mul_lo_u32 v4, v3, s12
	v_sub_nc_u32_e32 v4, v0, v4
	s_delay_alu instid0(VALU_DEP_1) | instskip(SKIP_1) | instid1(VALU_DEP_2)
	v_subrev_nc_u32_e32 v6, s12, v4
	v_cmp_le_u32_e32 vcc_lo, s12, v4
	v_dual_cndmask_b32 v4, v4, v6 :: v_dual_add_nc_u32 v5, 1, v3
	s_delay_alu instid0(VALU_DEP_1) | instskip(NEXT) | instid1(VALU_DEP_2)
	v_cndmask_b32_e32 v3, v3, v5, vcc_lo
	v_cmp_le_u32_e32 vcc_lo, s12, v4
	s_delay_alu instid0(VALU_DEP_2) | instskip(NEXT) | instid1(VALU_DEP_1)
	v_add_nc_u32_e32 v5, 1, v3
	v_dual_cndmask_b32 v4, v3, v5 :: v_dual_mov_b32 v5, v2
.LBB11_8:                               ;   in Loop: Header=BB11_4 Depth=1
	s_or_b32 exec_lo, exec_lo, s1
	s_delay_alu instid0(VALU_DEP_1) | instskip(SKIP_1) | instid1(VALU_DEP_1)
	v_or_b32_e32 v3, s11, v5
                                        ; implicit-def: $vgpr6_vgpr7
	s_mov_b32 s1, exec_lo
	v_cmpx_ne_u64_e32 0, v[2:3]
	s_xor_b32 s43, exec_lo, s1
	s_cbranch_execz .LBB11_10
; %bb.9:                                ;   in Loop: Header=BB11_4 Depth=1
	s_ashr_i32 s44, s11, 31
	v_dual_mov_b32 v11, v2 :: v_dual_ashrrev_i32 v6, 31, v5
	s_mov_b32 s45, s44
	s_delay_alu instid0(SALU_CYCLE_1) | instskip(NEXT) | instid1(VALU_DEP_1)
	s_add_nc_u64 s[46:47], s[10:11], s[44:45]
	v_mov_b32_e32 v7, v6
	s_xor_b64 s[46:47], s[46:47], s[44:45]
	s_delay_alu instid0(SALU_CYCLE_1)
	s_cvt_f32_u32 s1, s46
	s_cvt_f32_u32 s2, s47
	s_sub_nc_u64 s[58:59], 0, s[46:47]
	v_add_nc_u64_e32 v[8:9], v[4:5], v[6:7]
	v_mov_b32_e32 v17, v2
	s_fmamk_f32 s1, s2, 0x4f800000, s1
	s_delay_alu instid0(SALU_CYCLE_3) | instskip(NEXT) | instid1(VALU_DEP_2)
	v_s_rcp_f32 s1, s1
	v_xor_b32_e32 v10, v8, v6
	s_delay_alu instid0(VALU_DEP_3) | instskip(NEXT) | instid1(TRANS32_DEP_1)
	v_dual_mov_b32 v21, v2 :: v_dual_bitop2_b32 v16, v9, v6 bitop3:0x14
	s_mul_f32 s1, s1, 0x5f7ffffc
	s_delay_alu instid0(SALU_CYCLE_3) | instskip(NEXT) | instid1(SALU_CYCLE_3)
	s_mul_f32 s2, s1, 0x2f800000
	s_trunc_f32 s2, s2
	s_delay_alu instid0(SALU_CYCLE_3) | instskip(SKIP_1) | instid1(SALU_CYCLE_2)
	s_fmamk_f32 s1, s2, 0xcf800000, s1
	s_cvt_u32_f32 s57, s2
	s_cvt_u32_f32 s56, s1
	s_delay_alu instid0(SALU_CYCLE_3) | instskip(NEXT) | instid1(SALU_CYCLE_1)
	s_mul_u64 s[60:61], s[58:59], s[56:57]
	s_mul_hi_u32 s63, s56, s61
	s_mul_i32 s62, s56, s61
	s_mul_hi_u32 s2, s56, s60
	s_mul_i32 s45, s57, s60
	s_add_nc_u64 s[62:63], s[2:3], s[62:63]
	s_mul_hi_u32 s1, s57, s60
	s_mul_hi_u32 s55, s57, s61
	s_add_co_u32 s2, s62, s45
	s_add_co_ci_u32 s2, s63, s1
	s_mul_i32 s60, s57, s61
	s_add_co_ci_u32 s61, s55, 0
	s_delay_alu instid0(SALU_CYCLE_1) | instskip(NEXT) | instid1(SALU_CYCLE_1)
	s_add_nc_u64 s[60:61], s[2:3], s[60:61]
	s_add_co_u32 s56, s56, s60
	s_cselect_b32 s1, -1, 0
	s_delay_alu instid0(SALU_CYCLE_1) | instskip(SKIP_1) | instid1(SALU_CYCLE_1)
	s_cmp_lg_u32 s1, 0
	s_add_co_ci_u32 s57, s57, s61
	s_mul_u64 s[58:59], s[58:59], s[56:57]
	s_delay_alu instid0(SALU_CYCLE_1)
	s_mul_hi_u32 s61, s56, s59
	s_mul_i32 s60, s56, s59
	s_mul_hi_u32 s2, s56, s58
	s_mul_i32 s45, s57, s58
	s_add_nc_u64 s[60:61], s[2:3], s[60:61]
	s_mul_hi_u32 s1, s57, s58
	s_mul_hi_u32 s55, s57, s59
	s_add_co_u32 s2, s60, s45
	s_add_co_ci_u32 s2, s61, s1
	s_mul_i32 s58, s57, s59
	s_add_co_ci_u32 s59, s55, 0
	s_delay_alu instid0(SALU_CYCLE_1) | instskip(NEXT) | instid1(SALU_CYCLE_1)
	s_add_nc_u64 s[58:59], s[2:3], s[58:59]
	s_add_co_u32 s56, s56, s58
	s_cselect_b32 s1, -1, 0
	v_mul_hi_u32 v20, v10, s56
	s_cmp_lg_u32 s1, 0
	s_add_co_ci_u32 s2, s57, s59
	s_and_b64 s[58:59], s[56:57], s[36:37]
	v_mul_u64_e32 v[12:13], s[2:3], v[10:11]
	v_mul_u64_e32 v[8:9], s[58:59], v[16:17]
	;; [unrolled: 1-line block ×3, first 2 shown]
	s_delay_alu instid0(VALU_DEP_3) | instskip(NEXT) | instid1(VALU_DEP_1)
	v_add_nc_u64_e32 v[12:13], v[20:21], v[12:13]
	v_add_co_u32 v3, vcc_lo, v12, v8
	s_delay_alu instid0(VALU_DEP_2) | instskip(NEXT) | instid1(VALU_DEP_4)
	v_add_co_ci_u32_e32 v20, vcc_lo, v13, v9, vcc_lo
	v_add_co_ci_u32_e32 v19, vcc_lo, 0, v19, vcc_lo
	s_delay_alu instid0(VALU_DEP_1) | instskip(NEXT) | instid1(VALU_DEP_1)
	v_add_nc_u64_e32 v[8:9], v[20:21], v[18:19]
	v_mul_u64_e32 v[12:13], s[46:47], v[8:9]
	s_delay_alu instid0(VALU_DEP_1) | instskip(NEXT) | instid1(VALU_DEP_2)
	v_sub_nc_u32_e32 v3, v16, v13
	v_sub_co_u32 v5, vcc_lo, v10, v12
	s_delay_alu instid0(VALU_DEP_1) | instskip(NEXT) | instid1(VALU_DEP_3)
	v_sub_co_ci_u32_e64 v15, null, v16, v13, vcc_lo
	v_subrev_co_ci_u32_e64 v3, null, s47, v3, vcc_lo
	s_delay_alu instid0(VALU_DEP_3) | instskip(SKIP_1) | instid1(VALU_DEP_3)
	v_sub_co_u32 v7, s1, v5, s46
	v_add_nc_u64_e32 v[12:13], 1, v[8:9]
	v_subrev_co_ci_u32_e64 v3, null, 0, v3, s1
	s_delay_alu instid0(VALU_DEP_3) | instskip(SKIP_1) | instid1(VALU_DEP_3)
	v_cmp_le_u32_e32 vcc_lo, s46, v7
	v_cndmask_b32_e64 v7, 0, -1, vcc_lo
	v_cmp_le_u32_e32 vcc_lo, s47, v3
	v_cndmask_b32_e64 v10, 0, -1, vcc_lo
	;; [unrolled: 2-line block ×4, first 2 shown]
	v_cmp_eq_u32_e32 vcc_lo, s47, v3
	v_cndmask_b32_e32 v3, v10, v7, vcc_lo
	v_cmp_eq_u32_e32 vcc_lo, s47, v15
	v_add_nc_u64_e32 v[10:11], 2, v[8:9]
	v_cndmask_b32_e32 v5, v16, v5, vcc_lo
	s_delay_alu instid0(VALU_DEP_4) | instskip(NEXT) | instid1(VALU_DEP_2)
	v_cmp_ne_u32_e32 vcc_lo, 0, v3
	v_cmp_ne_u32_e64 s1, 0, v5
	s_delay_alu instid0(VALU_DEP_4) | instskip(NEXT) | instid1(VALU_DEP_1)
	v_dual_cndmask_b32 v3, v13, v11, vcc_lo :: v_dual_cndmask_b32 v5, v12, v10, vcc_lo
	v_dual_cndmask_b32 v3, v9, v3, s1 :: v_dual_bitop2_b32 v6, s44, v6 bitop3:0x14
	s_delay_alu instid0(VALU_DEP_1) | instskip(NEXT) | instid1(VALU_DEP_2)
	v_dual_cndmask_b32 v5, v8, v5, s1 :: v_dual_mov_b32 v7, v6
	v_xor_b32_e32 v9, v3, v6
	s_delay_alu instid0(VALU_DEP_2) | instskip(NEXT) | instid1(VALU_DEP_1)
	v_xor_b32_e32 v8, v5, v6
	v_sub_nc_u64_e32 v[6:7], v[8:9], v[6:7]
.LBB11_10:                              ;   in Loop: Header=BB11_4 Depth=1
	s_and_not1_saveexec_b32 s1, s43
	s_cbranch_execz .LBB11_12
; %bb.11:                               ;   in Loop: Header=BB11_4 Depth=1
	v_cvt_f32_u32_e32 v3, s10
	s_sub_co_i32 s2, 0, s10
	s_delay_alu instid0(VALU_DEP_1) | instskip(SKIP_1) | instid1(TRANS32_DEP_1)
	v_rcp_iflag_f32_e32 v3, v3
	v_nop
	v_mul_f32_e32 v3, 0x4f7ffffe, v3
	s_delay_alu instid0(VALU_DEP_1) | instskip(NEXT) | instid1(VALU_DEP_1)
	v_cvt_u32_f32_e32 v3, v3
	v_mul_lo_u32 v5, s2, v3
	s_delay_alu instid0(VALU_DEP_1) | instskip(NEXT) | instid1(VALU_DEP_1)
	v_mul_hi_u32 v5, v3, v5
	v_add_nc_u32_e32 v3, v3, v5
	s_delay_alu instid0(VALU_DEP_1) | instskip(NEXT) | instid1(VALU_DEP_1)
	v_mul_hi_u32 v3, v4, v3
	v_mul_lo_u32 v5, v3, s10
	s_delay_alu instid0(VALU_DEP_1) | instskip(NEXT) | instid1(VALU_DEP_1)
	v_dual_add_nc_u32 v6, 1, v3 :: v_dual_sub_nc_u32 v5, v4, v5
	v_subrev_nc_u32_e32 v7, s10, v5
	v_cmp_le_u32_e32 vcc_lo, s10, v5
	s_delay_alu instid0(VALU_DEP_2) | instskip(NEXT) | instid1(VALU_DEP_4)
	v_dual_cndmask_b32 v5, v5, v7, vcc_lo :: v_dual_mov_b32 v7, v2
	v_cndmask_b32_e32 v3, v3, v6, vcc_lo
	s_delay_alu instid0(VALU_DEP_2) | instskip(NEXT) | instid1(VALU_DEP_2)
	v_cmp_le_u32_e32 vcc_lo, s10, v5
	v_add_nc_u32_e32 v6, 1, v3
	s_delay_alu instid0(VALU_DEP_1)
	v_cndmask_b32_e32 v6, v3, v6, vcc_lo
.LBB11_12:                              ;   in Loop: Header=BB11_4 Depth=1
	s_or_b32 exec_lo, exec_lo, s1
	s_delay_alu instid0(VALU_DEP_1) | instskip(SKIP_1) | instid1(VALU_DEP_1)
	v_or_b32_e32 v3, s9, v7
                                        ; implicit-def: $vgpr12_vgpr13
	s_mov_b32 s1, exec_lo
	v_cmpx_ne_u64_e32 0, v[2:3]
	s_xor_b32 s43, exec_lo, s1
	s_cbranch_execz .LBB11_14
; %bb.13:                               ;   in Loop: Header=BB11_4 Depth=1
	s_ashr_i32 s44, s9, 31
	v_dual_mov_b32 v13, v2 :: v_dual_ashrrev_i32 v8, 31, v7
	s_mov_b32 s45, s44
	v_mov_b32_e32 v23, v2
	s_add_nc_u64 s[46:47], s[8:9], s[44:45]
	s_delay_alu instid0(VALU_DEP_2) | instskip(SKIP_1) | instid1(SALU_CYCLE_1)
	v_mov_b32_e32 v9, v8
	s_xor_b64 s[46:47], s[46:47], s[44:45]
	s_cvt_f32_u32 s1, s46
	s_cvt_f32_u32 s2, s47
	s_sub_nc_u64 s[58:59], 0, s[46:47]
	v_add_nc_u64_e32 v[10:11], v[6:7], v[8:9]
	v_mov_b32_e32 v19, v2
	s_fmamk_f32 s1, s2, 0x4f800000, s1
	s_delay_alu instid0(SALU_CYCLE_3) | instskip(NEXT) | instid1(VALU_DEP_2)
	v_s_rcp_f32 s1, s1
	v_xor_b32_e32 v12, v10, v8
	s_delay_alu instid0(VALU_DEP_3) | instskip(SKIP_1) | instid1(TRANS32_DEP_1)
	v_xor_b32_e32 v18, v11, v8
	v_xor_b32_e32 v8, s44, v8
	s_mul_f32 s1, s1, 0x5f7ffffc
	s_delay_alu instid0(SALU_CYCLE_3) | instskip(NEXT) | instid1(SALU_CYCLE_3)
	s_mul_f32 s2, s1, 0x2f800000
	s_trunc_f32 s2, s2
	s_delay_alu instid0(SALU_CYCLE_3) | instskip(SKIP_1) | instid1(SALU_CYCLE_2)
	s_fmamk_f32 s1, s2, 0xcf800000, s1
	s_cvt_u32_f32 s57, s2
	s_cvt_u32_f32 s56, s1
	s_delay_alu instid0(SALU_CYCLE_3) | instskip(NEXT) | instid1(SALU_CYCLE_1)
	s_mul_u64 s[60:61], s[58:59], s[56:57]
	s_mul_hi_u32 s63, s56, s61
	s_mul_i32 s62, s56, s61
	s_mul_hi_u32 s2, s56, s60
	s_mul_i32 s45, s57, s60
	s_add_nc_u64 s[62:63], s[2:3], s[62:63]
	s_mul_hi_u32 s1, s57, s60
	s_mul_hi_u32 s55, s57, s61
	s_add_co_u32 s2, s62, s45
	s_add_co_ci_u32 s2, s63, s1
	s_mul_i32 s60, s57, s61
	s_add_co_ci_u32 s61, s55, 0
	s_delay_alu instid0(SALU_CYCLE_1) | instskip(NEXT) | instid1(SALU_CYCLE_1)
	s_add_nc_u64 s[60:61], s[2:3], s[60:61]
	s_add_co_u32 s56, s56, s60
	s_cselect_b32 s1, -1, 0
	s_delay_alu instid0(SALU_CYCLE_1) | instskip(SKIP_1) | instid1(SALU_CYCLE_1)
	s_cmp_lg_u32 s1, 0
	s_add_co_ci_u32 s57, s57, s61
	s_mul_u64 s[58:59], s[58:59], s[56:57]
	s_delay_alu instid0(SALU_CYCLE_1)
	s_mul_hi_u32 s61, s56, s59
	s_mul_i32 s60, s56, s59
	s_mul_hi_u32 s2, s56, s58
	s_mul_i32 s45, s57, s58
	s_add_nc_u64 s[60:61], s[2:3], s[60:61]
	s_mul_hi_u32 s1, s57, s58
	s_mul_hi_u32 s55, s57, s59
	s_add_co_u32 s2, s60, s45
	s_add_co_ci_u32 s2, s61, s1
	s_mul_i32 s58, s57, s59
	s_add_co_ci_u32 s59, s55, 0
	s_delay_alu instid0(SALU_CYCLE_1) | instskip(NEXT) | instid1(SALU_CYCLE_1)
	s_add_nc_u64 s[58:59], s[2:3], s[58:59]
	s_add_co_u32 s56, s56, s58
	s_cselect_b32 s1, -1, 0
	v_mul_hi_u32 v22, v12, s56
	s_cmp_lg_u32 s1, 0
	s_add_co_ci_u32 s2, s57, s59
	s_and_b64 s[58:59], s[56:57], s[36:37]
	v_mul_u64_e32 v[16:17], s[2:3], v[12:13]
	v_mul_u64_e32 v[10:11], s[58:59], v[18:19]
	;; [unrolled: 1-line block ×3, first 2 shown]
	s_delay_alu instid0(VALU_DEP_3) | instskip(NEXT) | instid1(VALU_DEP_1)
	v_add_nc_u64_e32 v[16:17], v[22:23], v[16:17]
	v_add_co_u32 v3, vcc_lo, v16, v10
	s_delay_alu instid0(VALU_DEP_2) | instskip(NEXT) | instid1(VALU_DEP_4)
	v_add_co_ci_u32_e32 v22, vcc_lo, v17, v11, vcc_lo
	v_add_co_ci_u32_e32 v21, vcc_lo, 0, v21, vcc_lo
	s_delay_alu instid0(VALU_DEP_1) | instskip(NEXT) | instid1(VALU_DEP_1)
	v_add_nc_u64_e32 v[10:11], v[22:23], v[20:21]
	v_mul_u64_e32 v[16:17], s[46:47], v[10:11]
	s_delay_alu instid0(VALU_DEP_1) | instskip(NEXT) | instid1(VALU_DEP_2)
	v_sub_nc_u32_e32 v3, v18, v17
	v_sub_co_u32 v5, vcc_lo, v12, v16
	s_delay_alu instid0(VALU_DEP_1) | instskip(NEXT) | instid1(VALU_DEP_3)
	v_sub_co_ci_u32_e64 v9, null, v18, v17, vcc_lo
	v_subrev_co_ci_u32_e64 v3, null, s47, v3, vcc_lo
	s_delay_alu instid0(VALU_DEP_3) | instskip(SKIP_1) | instid1(VALU_DEP_3)
	v_sub_co_u32 v7, s1, v5, s46
	v_add_nc_u64_e32 v[16:17], 1, v[10:11]
	v_subrev_co_ci_u32_e64 v3, null, 0, v3, s1
	s_delay_alu instid0(VALU_DEP_3) | instskip(SKIP_1) | instid1(VALU_DEP_3)
	v_cmp_le_u32_e32 vcc_lo, s46, v7
	v_cndmask_b32_e64 v7, 0, -1, vcc_lo
	v_cmp_le_u32_e32 vcc_lo, s47, v3
	v_cndmask_b32_e64 v12, 0, -1, vcc_lo
	;; [unrolled: 2-line block ×4, first 2 shown]
	v_cmp_eq_u32_e32 vcc_lo, s47, v3
	v_cndmask_b32_e32 v3, v12, v7, vcc_lo
	v_cmp_eq_u32_e32 vcc_lo, s47, v9
	v_add_nc_u64_e32 v[12:13], 2, v[10:11]
	v_dual_mov_b32 v9, v8 :: v_dual_cndmask_b32 v5, v15, v5, vcc_lo
	s_delay_alu instid0(VALU_DEP_4) | instskip(NEXT) | instid1(VALU_DEP_2)
	v_cmp_ne_u32_e32 vcc_lo, 0, v3
	v_cmp_ne_u32_e64 s1, 0, v5
	s_delay_alu instid0(VALU_DEP_4) | instskip(NEXT) | instid1(VALU_DEP_1)
	v_dual_cndmask_b32 v3, v17, v13, vcc_lo :: v_dual_cndmask_b32 v5, v16, v12, vcc_lo
	v_dual_cndmask_b32 v3, v11, v3, s1 :: v_dual_cndmask_b32 v5, v10, v5, s1
	s_delay_alu instid0(VALU_DEP_1) | instskip(NEXT) | instid1(VALU_DEP_2)
	v_xor_b32_e32 v11, v3, v8
	v_xor_b32_e32 v10, v5, v8
	s_delay_alu instid0(VALU_DEP_1)
	v_sub_nc_u64_e32 v[12:13], v[10:11], v[8:9]
.LBB11_14:                              ;   in Loop: Header=BB11_4 Depth=1
	s_and_not1_saveexec_b32 s1, s43
	s_cbranch_execz .LBB11_16
; %bb.15:                               ;   in Loop: Header=BB11_4 Depth=1
	v_cvt_f32_u32_e32 v3, s8
	s_sub_co_i32 s2, 0, s8
	s_delay_alu instid0(VALU_DEP_1) | instskip(SKIP_1) | instid1(TRANS32_DEP_1)
	v_rcp_iflag_f32_e32 v3, v3
	v_nop
	v_mul_f32_e32 v3, 0x4f7ffffe, v3
	s_delay_alu instid0(VALU_DEP_1) | instskip(NEXT) | instid1(VALU_DEP_1)
	v_cvt_u32_f32_e32 v3, v3
	v_mul_lo_u32 v5, s2, v3
	s_delay_alu instid0(VALU_DEP_1) | instskip(NEXT) | instid1(VALU_DEP_1)
	v_mul_hi_u32 v5, v3, v5
	v_add_nc_u32_e32 v3, v3, v5
	s_delay_alu instid0(VALU_DEP_1) | instskip(NEXT) | instid1(VALU_DEP_1)
	v_mul_hi_u32 v3, v6, v3
	v_mul_lo_u32 v5, v3, s8
	s_delay_alu instid0(VALU_DEP_1) | instskip(NEXT) | instid1(VALU_DEP_1)
	v_sub_nc_u32_e32 v5, v6, v5
	v_subrev_nc_u32_e32 v8, s8, v5
	v_cmp_le_u32_e32 vcc_lo, s8, v5
	s_delay_alu instid0(VALU_DEP_2) | instskip(NEXT) | instid1(VALU_DEP_1)
	v_dual_add_nc_u32 v7, 1, v3 :: v_dual_cndmask_b32 v5, v5, v8, vcc_lo
	v_cndmask_b32_e32 v3, v3, v7, vcc_lo
	s_delay_alu instid0(VALU_DEP_2) | instskip(NEXT) | instid1(VALU_DEP_2)
	v_cmp_le_u32_e32 vcc_lo, s8, v5
	v_add_nc_u32_e32 v7, 1, v3
	s_delay_alu instid0(VALU_DEP_1)
	v_cndmask_b32_e32 v12, v3, v7, vcc_lo
.LBB11_16:                              ;   in Loop: Header=BB11_4 Depth=1
	s_or_b32 exec_lo, exec_lo, s1
	v_mul_lo_u32 v3, v6, s10
	s_mov_b32 s1, exec_lo
	v_dual_mov_b32 v8, 0 :: v_dual_mov_b32 v10, 0
	s_delay_alu instid0(VALU_DEP_2) | instskip(NEXT) | instid1(VALU_DEP_1)
	v_sub_nc_u32_e32 v3, v4, v3
	v_add_nc_u32_e32 v3, s24, v3
	s_delay_alu instid0(VALU_DEP_1)
	v_cmpx_le_i32_e64 s20, v3
	s_cbranch_execz .LBB11_18
; %bb.17:                               ;   in Loop: Header=BB11_4 Depth=1
	v_subrev_nc_u32_e32 v10, s20, v3
	v_mov_b32_e32 v11, v2
	s_delay_alu instid0(VALU_DEP_1) | instskip(NEXT) | instid1(VALU_DEP_1)
	v_mul_u64_e32 v[16:17], s[30:31], v[10:11]
	v_mul_lo_u32 v5, v17, s33
	v_add_nc_u32_e32 v7, 1, v17
	s_delay_alu instid0(VALU_DEP_2) | instskip(NEXT) | instid1(VALU_DEP_1)
	v_sub_nc_u32_e32 v5, v10, v5
	v_cmp_le_u32_e32 vcc_lo, s33, v5
	s_delay_alu instid0(VALU_DEP_3) | instskip(SKIP_1) | instid1(VALU_DEP_1)
	v_cndmask_b32_e32 v7, v17, v7, vcc_lo
	v_subrev_nc_u32_e32 v9, s33, v5
	v_dual_cndmask_b32 v5, v5, v9, vcc_lo :: v_dual_add_nc_u32 v9, 1, v7
	s_delay_alu instid0(VALU_DEP_1) | instskip(NEXT) | instid1(VALU_DEP_2)
	v_cmp_le_u32_e32 vcc_lo, s33, v5
	v_cndmask_b32_e32 v5, v7, v9, vcc_lo
	s_delay_alu instid0(VALU_DEP_1) | instskip(NEXT) | instid1(VALU_DEP_1)
	v_xor_b32_e32 v5, s51, v5
	v_subrev_nc_u32_e32 v5, s51, v5
	s_delay_alu instid0(VALU_DEP_1)
	v_add_nc_u32_e32 v10, 1, v5
.LBB11_18:                              ;   in Loop: Header=BB11_4 Depth=1
	s_or_b32 exec_lo, exec_lo, s1
	v_mul_lo_u32 v4, v4, s12
	s_mov_b32 s1, exec_lo
	s_delay_alu instid0(VALU_DEP_1) | instskip(NEXT) | instid1(VALU_DEP_1)
	v_sub_nc_u32_e32 v4, v0, v4
	v_add_nc_u32_e32 v7, s25, v4
	s_delay_alu instid0(VALU_DEP_1)
	v_cmpx_le_i32_e64 s21, v7
	s_cbranch_execz .LBB11_20
; %bb.19:                               ;   in Loop: Header=BB11_4 Depth=1
	v_subrev_nc_u32_e32 v4, s21, v7
	v_mov_b32_e32 v5, v2
	s_delay_alu instid0(VALU_DEP_1) | instskip(NEXT) | instid1(VALU_DEP_1)
	v_mul_u64_e32 v[8:9], s[34:35], v[4:5]
	v_mul_lo_u32 v5, v9, s48
	s_delay_alu instid0(VALU_DEP_1) | instskip(SKIP_1) | instid1(VALU_DEP_2)
	v_sub_nc_u32_e32 v4, v4, v5
	v_add_nc_u32_e32 v5, 1, v9
	v_cmp_le_u32_e32 vcc_lo, s48, v4
	s_delay_alu instid0(VALU_DEP_2) | instskip(SKIP_1) | instid1(VALU_DEP_1)
	v_cndmask_b32_e32 v5, v9, v5, vcc_lo
	v_subrev_nc_u32_e32 v8, s48, v4
	v_dual_cndmask_b32 v4, v4, v8, vcc_lo :: v_dual_add_nc_u32 v8, 1, v5
	s_delay_alu instid0(VALU_DEP_1) | instskip(NEXT) | instid1(VALU_DEP_2)
	v_cmp_le_u32_e32 vcc_lo, s48, v4
	v_cndmask_b32_e32 v4, v5, v8, vcc_lo
	s_delay_alu instid0(VALU_DEP_1) | instskip(NEXT) | instid1(VALU_DEP_1)
	v_xor_b32_e32 v4, s52, v4
	v_subrev_nc_u32_e32 v4, s52, v4
	s_delay_alu instid0(VALU_DEP_1)
	v_add_nc_u32_e32 v8, 1, v4
.LBB11_20:                              ;   in Loop: Header=BB11_4 Depth=1
	s_or_b32 exec_lo, exec_lo, s1
	v_dual_mov_b32 v5, v2 :: v_dual_sub_nc_u32 v4, 0, v3
	s_mov_b32 s43, exec_lo
	s_delay_alu instid0(VALU_DEP_1) | instskip(NEXT) | instid1(VALU_DEP_1)
	v_max_i32_e32 v4, v3, v4
	v_mul_u64_e32 v[16:17], s[30:31], v[4:5]
	s_delay_alu instid0(VALU_DEP_1) | instskip(NEXT) | instid1(VALU_DEP_1)
	v_mul_lo_u32 v5, v17, s33
	v_sub_nc_u32_e32 v4, v4, v5
	v_add_nc_u32_e32 v5, 1, v17
	s_delay_alu instid0(VALU_DEP_2) | instskip(NEXT) | instid1(VALU_DEP_2)
	v_cmp_le_u32_e32 vcc_lo, s33, v4
	v_cndmask_b32_e32 v5, v17, v5, vcc_lo
	v_subrev_nc_u32_e32 v9, s33, v4
	s_delay_alu instid0(VALU_DEP_1) | instskip(NEXT) | instid1(VALU_DEP_1)
	v_dual_cndmask_b32 v4, v4, v9 :: v_dual_ashrrev_i32 v3, 31, v3
	v_dual_add_nc_u32 v9, 1, v5 :: v_dual_bitop2_b32 v3, s51, v3 bitop3:0x14
	s_delay_alu instid0(VALU_DEP_2) | instskip(NEXT) | instid1(VALU_DEP_2)
	v_cmp_le_u32_e32 vcc_lo, s33, v4
	v_cndmask_b32_e32 v4, v5, v9, vcc_lo
	s_delay_alu instid0(VALU_DEP_1) | instskip(NEXT) | instid1(VALU_DEP_1)
	v_xor_b32_e32 v4, v4, v3
	v_sub_nc_u32_e32 v3, v4, v3
	v_mov_b64_e32 v[4:5], 0
	s_delay_alu instid0(VALU_DEP_2) | instskip(NEXT) | instid1(VALU_DEP_1)
	v_add_min_i32_e64 v3, v3, 1, s14
	v_cmpx_lt_i32_e64 v10, v3
	s_cbranch_execz .LBB11_3
; %bb.21:                               ;   in Loop: Header=BB11_4 Depth=1
	v_dual_mov_b32 v5, v2 :: v_dual_sub_nc_u32 v4, 0, v7
	v_dual_ashrrev_i32 v11, 31, v10 :: v_dual_ashrrev_i32 v9, 31, v8
	s_mov_b32 s44, 0
	s_delay_alu instid0(VALU_DEP_2) | instskip(NEXT) | instid1(VALU_DEP_2)
	v_dual_ashrrev_i32 v7, 31, v7 :: v_dual_max_i32 v4, v7, v4
	v_lshlrev_b64_e32 v[20:21], 3, v[10:11]
	s_delay_alu instid0(VALU_DEP_3) | instskip(NEXT) | instid1(VALU_DEP_3)
	v_lshlrev_b64_e32 v[22:23], 3, v[8:9]
	v_mul_u64_e32 v[16:17], s[34:35], v[4:5]
	v_mul_lo_u32 v5, v12, s8
	v_mul_lo_u32 v16, s23, v8
	s_delay_alu instid0(VALU_DEP_2) | instskip(SKIP_1) | instid1(VALU_DEP_2)
	v_dual_sub_nc_u32 v18, v6, v5 :: v_dual_bitop2_b32 v7, s52, v7 bitop3:0x14
	v_ashrrev_i32_e32 v5, 31, v12
	v_dual_add_nc_u32 v15, s53, v16 :: v_dual_ashrrev_i32 v19, 31, v18
	s_delay_alu instid0(VALU_DEP_1) | instskip(SKIP_1) | instid1(VALU_DEP_2)
	v_mad_nc_u64_u32 v[18:19], v12, s8, v[18:19]
	v_mul_lo_u32 v6, v17, s48
	v_mad_u32 v5, v5, s8, v19
	s_delay_alu instid0(VALU_DEP_3) | instskip(NEXT) | instid1(VALU_DEP_3)
	v_mad_nc_u64_u32 v[20:21], s38, v18, v[20:21]
	v_dual_add_nc_u32 v9, 1, v17 :: v_dual_sub_nc_u32 v4, v4, v6
	s_delay_alu instid0(VALU_DEP_3) | instskip(NEXT) | instid1(VALU_DEP_3)
	v_mad_u32 v5, v12, s9, v5
	v_mad_u32 v6, s39, v18, v21
	s_delay_alu instid0(VALU_DEP_4) | instskip(NEXT) | instid1(VALU_DEP_4)
	v_mad_nc_u64_u32 v[12:13], s16, v20, v[22:23]
	v_subrev_nc_u32_e32 v11, s48, v4
	v_cmp_le_u32_e32 vcc_lo, s48, v4
	s_delay_alu instid0(VALU_DEP_2) | instskip(SKIP_2) | instid1(VALU_DEP_3)
	v_dual_cndmask_b32 v9, v17, v9 :: v_dual_cndmask_b32 v4, v4, v11
	v_mad_u32 v5, s38, v5, v6
	v_mad_u32 v6, s17, v20, v13
	v_add_nc_u32_e32 v11, 1, v9
	s_delay_alu instid0(VALU_DEP_4) | instskip(NEXT) | instid1(VALU_DEP_2)
	v_cmp_le_u32_e32 vcc_lo, s48, v4
	v_dual_cndmask_b32 v4, v9, v11 :: v_dual_add_nc_u32 v11, s15, v16
	v_sub_nc_u32_e32 v16, s25, v16
	v_mad_u32 v13, s16, v5, v6
	s_delay_alu instid0(VALU_DEP_3) | instskip(NEXT) | instid1(VALU_DEP_1)
	v_xor_b32_e32 v4, v4, v7
	v_sub_nc_u32_e32 v4, v4, v7
	s_delay_alu instid0(VALU_DEP_3) | instskip(NEXT) | instid1(VALU_DEP_2)
	v_add_nc_u64_e32 v[6:7], s[6:7], v[12:13]
	v_add_min_i32_e64 v9, v4, 1, s16
	v_mov_b64_e32 v[4:5], 0
	s_delay_alu instid0(VALU_DEP_2)
	v_cmp_lt_i32_e64 s1, v8, v9
	s_branch .LBB11_24
.LBB11_22:                              ;   in Loop: Header=BB11_24 Depth=2
	s_or_b32 exec_lo, exec_lo, s46
.LBB11_23:                              ;   in Loop: Header=BB11_24 Depth=2
	s_delay_alu instid0(SALU_CYCLE_1) | instskip(SKIP_2) | instid1(VALU_DEP_2)
	s_or_b32 exec_lo, exec_lo, s45
	v_add_nc_u32_e32 v10, 1, v10
	v_add_nc_u64_e32 v[6:7], s[40:41], v[6:7]
	v_cmp_ge_i32_e32 vcc_lo, v10, v3
	s_or_b32 s44, vcc_lo, s44
	s_delay_alu instid0(SALU_CYCLE_1)
	s_and_not1_b32 exec_lo, exec_lo, s44
	s_cbranch_execz .LBB11_2
.LBB11_24:                              ;   Parent Loop BB11_4 Depth=1
                                        ; =>  This Loop Header: Depth=2
                                        ;       Child Loop BB11_27 Depth 3
	s_delay_alu instid0(VALU_DEP_1)
	s_and_saveexec_b32 s45, s1
	s_cbranch_execz .LBB11_23
; %bb.25:                               ;   in Loop: Header=BB11_24 Depth=2
	v_mul_lo_u32 v12, v10, s22
	s_mov_b32 s46, 0
	v_mov_b32_e32 v18, v15
	s_delay_alu instid0(VALU_DEP_2) | instskip(SKIP_2) | instid1(VALU_DEP_3)
	v_subrev_nc_u32_e32 v20, s24, v12
	v_mov_b32_e32 v17, v16
	v_mov_b64_e32 v[12:13], v[6:7]
	v_add_min_i32_e64 v21, v20, s20, s49
	v_dual_mov_b32 v19, v11 :: v_dual_max_i32 v22, 0, v20
	s_delay_alu instid0(VALU_DEP_2) | instskip(NEXT) | instid1(VALU_DEP_1)
	v_dual_sub_nc_u32 v20, v21, v20 :: v_dual_min_i32 v23, s10, v21
	v_cmp_gt_i32_e64 s2, v23, v22
	v_dual_mov_b32 v22, v8 :: v_dual_sub_nc_u32 v21, v23, v22
	s_branch .LBB11_27
.LBB11_26:                              ;   in Loop: Header=BB11_27 Depth=3
	s_wait_xcnt 0x0
	s_or_b32 exec_lo, exec_lo, s47
	v_dual_add_nc_u32 v22, 1, v22 :: v_dual_add_nc_u32 v19, s23, v19
	v_add_nc_u64_e32 v[12:13], 8, v[12:13]
	v_add_nc_u32_e32 v18, s23, v18
	v_subrev_nc_u32_e32 v17, s23, v17
	s_delay_alu instid0(VALU_DEP_4) | instskip(SKIP_1) | instid1(SALU_CYCLE_1)
	v_cmp_ge_i32_e32 vcc_lo, v22, v9
	s_or_b32 s46, vcc_lo, s46
	s_and_not1_b32 exec_lo, exec_lo, s46
	s_cbranch_execz .LBB11_22
.LBB11_27:                              ;   Parent Loop BB11_4 Depth=1
                                        ;     Parent Loop BB11_24 Depth=2
                                        ; =>    This Inner Loop Header: Depth=3
	v_dual_add_nc_u32 v24, s21, v19 :: v_dual_max_i32 v23, 0, v19
	s_delay_alu instid0(VALU_DEP_1) | instskip(NEXT) | instid1(VALU_DEP_1)
	v_min3_i32 v24, v24, s50, s12
	v_cmp_gt_i32_e32 vcc_lo, v24, v23
	s_and_b32 s55, s2, vcc_lo
	s_delay_alu instid0(SALU_CYCLE_1)
	s_and_saveexec_b32 s47, s55
	s_cbranch_execz .LBB11_26
; %bb.28:                               ;   in Loop: Header=BB11_27 Depth=3
	global_load_b64 v[26:27], v[12:13], off
	v_dual_sub_nc_u32 v23, v24, v23 :: v_dual_min_i32 v25, s50, v18
	s_delay_alu instid0(VALU_DEP_1) | instskip(NEXT) | instid1(VALU_DEP_2)
	v_add_nc_u32_e32 v24, v25, v17
	v_mul_lo_u32 v23, v23, v21
	s_delay_alu instid0(VALU_DEP_2) | instskip(NEXT) | instid1(VALU_DEP_1)
	v_mul_lo_u32 v24, v24, v20
	v_cndmask_b32_e64 v23, v23, v24, s0
	s_delay_alu instid0(VALU_DEP_1) | instskip(NEXT) | instid1(VALU_DEP_1)
	v_cndmask_b32_e64 v23, v23, s28, s29
	v_cvt_f64_i32_e32 v[24:25], v23
	s_wait_loadcnt 0x0
	s_delay_alu instid0(VALU_DEP_1) | instskip(NEXT) | instid1(VALU_DEP_1)
	v_div_scale_f64 v[28:29], null, v[24:25], v[24:25], v[26:27]
	v_rcp_f64_e32 v[30:31], v[28:29]
	v_nop
	s_delay_alu instid0(TRANS32_DEP_1) | instskip(NEXT) | instid1(VALU_DEP_1)
	v_fma_f64 v[32:33], -v[28:29], v[30:31], 1.0
	v_fmac_f64_e32 v[30:31], v[30:31], v[32:33]
	s_delay_alu instid0(VALU_DEP_1) | instskip(NEXT) | instid1(VALU_DEP_1)
	v_fma_f64 v[32:33], -v[28:29], v[30:31], 1.0
	v_fmac_f64_e32 v[30:31], v[30:31], v[32:33]
	v_div_scale_f64 v[32:33], vcc_lo, v[26:27], v[24:25], v[26:27]
	s_delay_alu instid0(VALU_DEP_1) | instskip(NEXT) | instid1(VALU_DEP_1)
	v_mul_f64_e32 v[34:35], v[32:33], v[30:31]
	v_fma_f64 v[28:29], -v[28:29], v[34:35], v[32:33]
	s_delay_alu instid0(VALU_DEP_1) | instskip(NEXT) | instid1(VALU_DEP_1)
	v_div_fmas_f64 v[28:29], v[28:29], v[30:31], v[34:35]
	v_div_fixup_f64 v[24:25], v[28:29], v[24:25], v[26:27]
	s_delay_alu instid0(VALU_DEP_1)
	v_add_f64_e32 v[4:5], v[4:5], v[24:25]
	s_branch .LBB11_26
.LBB11_29:
	s_endpgm
	.section	.rodata,"a",@progbits
	.p2align	6, 0x0
	.amdhsa_kernel _ZN2at6native12_GLOBAL__N_134avg_pool2d_backward_out_cuda_frameIddlEEvT1_PKT_llllliiiiiiPS4_ibb
		.amdhsa_group_segment_fixed_size 0
		.amdhsa_private_segment_fixed_size 0
		.amdhsa_kernarg_size 352
		.amdhsa_user_sgpr_count 2
		.amdhsa_user_sgpr_dispatch_ptr 0
		.amdhsa_user_sgpr_queue_ptr 0
		.amdhsa_user_sgpr_kernarg_segment_ptr 1
		.amdhsa_user_sgpr_dispatch_id 0
		.amdhsa_user_sgpr_kernarg_preload_length 0
		.amdhsa_user_sgpr_kernarg_preload_offset 0
		.amdhsa_user_sgpr_private_segment_size 0
		.amdhsa_wavefront_size32 1
		.amdhsa_uses_dynamic_stack 0
		.amdhsa_enable_private_segment 0
		.amdhsa_system_sgpr_workgroup_id_x 1
		.amdhsa_system_sgpr_workgroup_id_y 0
		.amdhsa_system_sgpr_workgroup_id_z 0
		.amdhsa_system_sgpr_workgroup_info 0
		.amdhsa_system_vgpr_workitem_id 0
		.amdhsa_next_free_vgpr 36
		.amdhsa_next_free_sgpr 64
		.amdhsa_named_barrier_count 0
		.amdhsa_reserve_vcc 1
		.amdhsa_float_round_mode_32 0
		.amdhsa_float_round_mode_16_64 0
		.amdhsa_float_denorm_mode_32 3
		.amdhsa_float_denorm_mode_16_64 3
		.amdhsa_fp16_overflow 0
		.amdhsa_memory_ordered 1
		.amdhsa_forward_progress 1
		.amdhsa_inst_pref_size 30
		.amdhsa_round_robin_scheduling 0
		.amdhsa_exception_fp_ieee_invalid_op 0
		.amdhsa_exception_fp_denorm_src 0
		.amdhsa_exception_fp_ieee_div_zero 0
		.amdhsa_exception_fp_ieee_overflow 0
		.amdhsa_exception_fp_ieee_underflow 0
		.amdhsa_exception_fp_ieee_inexact 0
		.amdhsa_exception_int_div_zero 0
	.end_amdhsa_kernel
	.section	.text._ZN2at6native12_GLOBAL__N_134avg_pool2d_backward_out_cuda_frameIddlEEvT1_PKT_llllliiiiiiPS4_ibb,"axG",@progbits,_ZN2at6native12_GLOBAL__N_134avg_pool2d_backward_out_cuda_frameIddlEEvT1_PKT_llllliiiiiiPS4_ibb,comdat
.Lfunc_end11:
	.size	_ZN2at6native12_GLOBAL__N_134avg_pool2d_backward_out_cuda_frameIddlEEvT1_PKT_llllliiiiiiPS4_ibb, .Lfunc_end11-_ZN2at6native12_GLOBAL__N_134avg_pool2d_backward_out_cuda_frameIddlEEvT1_PKT_llllliiiiiiPS4_ibb
                                        ; -- End function
	.set _ZN2at6native12_GLOBAL__N_134avg_pool2d_backward_out_cuda_frameIddlEEvT1_PKT_llllliiiiiiPS4_ibb.num_vgpr, 36
	.set _ZN2at6native12_GLOBAL__N_134avg_pool2d_backward_out_cuda_frameIddlEEvT1_PKT_llllliiiiiiPS4_ibb.num_agpr, 0
	.set _ZN2at6native12_GLOBAL__N_134avg_pool2d_backward_out_cuda_frameIddlEEvT1_PKT_llllliiiiiiPS4_ibb.numbered_sgpr, 64
	.set _ZN2at6native12_GLOBAL__N_134avg_pool2d_backward_out_cuda_frameIddlEEvT1_PKT_llllliiiiiiPS4_ibb.num_named_barrier, 0
	.set _ZN2at6native12_GLOBAL__N_134avg_pool2d_backward_out_cuda_frameIddlEEvT1_PKT_llllliiiiiiPS4_ibb.private_seg_size, 0
	.set _ZN2at6native12_GLOBAL__N_134avg_pool2d_backward_out_cuda_frameIddlEEvT1_PKT_llllliiiiiiPS4_ibb.uses_vcc, 1
	.set _ZN2at6native12_GLOBAL__N_134avg_pool2d_backward_out_cuda_frameIddlEEvT1_PKT_llllliiiiiiPS4_ibb.uses_flat_scratch, 0
	.set _ZN2at6native12_GLOBAL__N_134avg_pool2d_backward_out_cuda_frameIddlEEvT1_PKT_llllliiiiiiPS4_ibb.has_dyn_sized_stack, 0
	.set _ZN2at6native12_GLOBAL__N_134avg_pool2d_backward_out_cuda_frameIddlEEvT1_PKT_llllliiiiiiPS4_ibb.has_recursion, 0
	.set _ZN2at6native12_GLOBAL__N_134avg_pool2d_backward_out_cuda_frameIddlEEvT1_PKT_llllliiiiiiPS4_ibb.has_indirect_call, 0
	.section	.AMDGPU.csdata,"",@progbits
; Kernel info:
; codeLenInByte = 3756
; TotalNumSgprs: 66
; NumVgprs: 36
; ScratchSize: 0
; MemoryBound: 0
; FloatMode: 240
; IeeeMode: 1
; LDSByteSize: 0 bytes/workgroup (compile time only)
; SGPRBlocks: 0
; VGPRBlocks: 2
; NumSGPRsForWavesPerEU: 66
; NumVGPRsForWavesPerEU: 36
; NamedBarCnt: 0
; Occupancy: 16
; WaveLimiterHint : 0
; COMPUTE_PGM_RSRC2:SCRATCH_EN: 0
; COMPUTE_PGM_RSRC2:USER_SGPR: 2
; COMPUTE_PGM_RSRC2:TRAP_HANDLER: 0
; COMPUTE_PGM_RSRC2:TGID_X_EN: 1
; COMPUTE_PGM_RSRC2:TGID_Y_EN: 0
; COMPUTE_PGM_RSRC2:TGID_Z_EN: 0
; COMPUTE_PGM_RSRC2:TIDIG_COMP_CNT: 0
	.section	.text._ZN2at6native12_GLOBAL__N_139avg_pool2d_backward_out_cuda_frame_nhwcIffiEEvT1_PKT_llliiiiiiiiPS4_ibb,"axG",@progbits,_ZN2at6native12_GLOBAL__N_139avg_pool2d_backward_out_cuda_frame_nhwcIffiEEvT1_PKT_llliiiiiiiiPS4_ibb,comdat
	.globl	_ZN2at6native12_GLOBAL__N_139avg_pool2d_backward_out_cuda_frame_nhwcIffiEEvT1_PKT_llliiiiiiiiPS4_ibb ; -- Begin function _ZN2at6native12_GLOBAL__N_139avg_pool2d_backward_out_cuda_frame_nhwcIffiEEvT1_PKT_llliiiiiiiiPS4_ibb
	.p2align	8
	.type	_ZN2at6native12_GLOBAL__N_139avg_pool2d_backward_out_cuda_frame_nhwcIffiEEvT1_PKT_llliiiiiiiiPS4_ibb,@function
_ZN2at6native12_GLOBAL__N_139avg_pool2d_backward_out_cuda_frame_nhwcIffiEEvT1_PKT_llliiiiiiiiPS4_ibb: ; @_ZN2at6native12_GLOBAL__N_139avg_pool2d_backward_out_cuda_frame_nhwcIffiEEvT1_PKT_llliiiiiiiiPS4_ibb
; %bb.0:
	s_clause 0x1
	s_load_b32 s24, s[0:1], 0x0
	s_load_b32 s2, s[0:1], 0x64
	s_bfe_u32 s3, ttmp6, 0x4000c
	v_mov_b32_e32 v2, 0
	s_add_co_i32 s3, s3, 1
	s_and_b32 s4, ttmp6, 15
	s_mul_i32 s3, ttmp9, s3
	s_getreg_b32 s5, hwreg(HW_REG_IB_STS2, 6, 4)
	v_mov_b32_e32 v1, v2
	s_add_co_i32 s4, s4, s3
	s_wait_kmcnt 0x0
	s_ashr_i32 s25, s24, 31
	s_and_b32 s2, s2, 0xffff
	s_cmp_eq_u32 s5, 0
	s_cselect_b32 s3, ttmp9, s4
	s_mov_b32 s4, exec_lo
	v_mad_nc_u64_u32 v[0:1], s2, s3, v[0:1]
	s_mov_b32 s3, 0
	s_delay_alu instid0(VALU_DEP_1)
	v_cmpx_gt_i64_e64 s[24:25], v[0:1]
	s_cbranch_execz .LBB12_29
; %bb.1:
	s_clause 0x2
	s_load_b128 s[20:23], s[0:1], 0x48
	s_load_b256 s[4:11], s[0:1], 0x28
	s_load_b256 s[12:19], s[0:1], 0x8
	s_add_nc_u64 s[26:27], s[0:1], 0x58
	s_load_b32 s28, s[0:1], 0x54
	s_load_b32 s30, s[26:27], 0x0
	s_wait_xcnt 0x0
	s_mov_b32 s27, s3
	s_mov_b32 s29, s3
	s_mov_b32 s31, s3
	s_mov_b64 s[34:35], 0xffffffff
	s_mov_b32 s51, 0
	s_wait_kmcnt 0x0
	s_bitcmp1_b32 s23, 0
	s_mov_b32 s38, s4
	s_cselect_b32 s0, -1, 0
	s_bitcmp1_b32 s28, 8
	s_mul_i32 s26, s30, s2
	s_cselect_b32 s23, -1, 0
	s_abs_i32 s33, s8
	s_abs_i32 s44, s9
	s_cvt_f32_u32 s1, s33
	s_cvt_f32_u32 s2, s44
	v_cvt_f32_u32_e32 v3, s14
	s_sub_co_i32 s28, 0, s33
	v_rcp_iflag_f32_e32 v4, s1
	v_rcp_iflag_f32_e32 v5, s2
	s_sub_co_i32 s30, 0, s44
	v_rcp_iflag_f32_e32 v3, v3
	s_ashr_i32 s39, s4, 31
	s_mov_b32 s40, s5
	s_ashr_i32 s41, s5, 31
	v_readfirstlane_b32 s1, v4
	v_readfirstlane_b32 s2, v5
	s_mul_u64 s[38:39], s[14:15], s[38:39]
	v_mul_f32_e32 v3, 0x4f7ffffe, v3
	s_add_co_i32 s45, s10, s16
	s_mul_f32 s1, s1, 0x4f7ffffe
	s_mul_f32 s2, s2, 0x4f7ffffe
	s_add_co_i32 s46, s11, s18
	v_cvt_u32_f32_e32 v10, v3
	s_cvt_u32_f32 s1, s1
	s_cvt_u32_f32 s2, s2
	s_ashr_i32 s47, s8, 31
	s_ashr_i32 s48, s9, 31
	s_mul_i32 s28, s28, s1
	s_mul_i32 s30, s30, s2
	s_mul_hi_u32 s28, s1, s28
	s_mul_hi_u32 s30, s2, s30
	s_sub_co_i32 s49, 0, s11
	s_sub_co_i32 s50, s7, s11
	s_ashr_i32 s36, s15, 31
	s_mul_u64 s[38:39], s[38:39], s[40:41]
	s_add_co_i32 s28, s1, s28
	s_add_co_i32 s30, s2, s30
	s_branch .LBB12_4
.LBB12_2:                               ;   in Loop: Header=BB12_4 Depth=1
	s_or_b32 exec_lo, exec_lo, s40
.LBB12_3:                               ;   in Loop: Header=BB12_4 Depth=1
	s_delay_alu instid0(SALU_CYCLE_1)
	s_or_b32 exec_lo, exec_lo, s37
	v_lshl_add_u64 v[4:5], v[0:1], 2, s[20:21]
	v_add_nc_u64_e32 v[0:1], s[26:27], v[0:1]
	global_store_b32 v[4:5], v11, off
	v_cmp_le_i64_e32 vcc_lo, s[24:25], v[0:1]
	s_or_b32 s51, vcc_lo, s51
	s_wait_xcnt 0x0
	s_and_not1_b32 exec_lo, exec_lo, s51
	s_cbranch_execz .LBB12_29
.LBB12_4:                               ; =>This Loop Header: Depth=1
                                        ;     Child Loop BB12_24 Depth 2
                                        ;       Child Loop BB12_27 Depth 3
	v_or_b32_e32 v3, s15, v1
                                        ; implicit-def: $vgpr4_vgpr5
	s_mov_b32 s1, exec_lo
	s_delay_alu instid0(VALU_DEP_1)
	v_cmpx_ne_u64_e32 0, v[2:3]
	s_xor_b32 s42, exec_lo, s1
	s_cbranch_execz .LBB12_6
; %bb.5:                                ;   in Loop: Header=BB12_4 Depth=1
	s_mov_b32 s37, s36
	v_dual_mov_b32 v9, v2 :: v_dual_ashrrev_i32 v4, 31, v1
	s_add_nc_u64 s[40:41], s[14:15], s[36:37]
	v_mov_b32_e32 v19, v2
	s_xor_b64 s[40:41], s[40:41], s[36:37]
	s_delay_alu instid0(VALU_DEP_2) | instskip(SKIP_3) | instid1(VALU_DEP_1)
	v_mov_b32_e32 v5, v4
	s_cvt_f32_u32 s1, s40
	s_cvt_f32_u32 s2, s41
	s_sub_nc_u64 s[54:55], 0, s[40:41]
	v_add_nc_u64_e32 v[6:7], v[0:1], v[4:5]
	s_delay_alu instid0(SALU_CYCLE_1) | instskip(SKIP_1) | instid1(SALU_CYCLE_2)
	s_fmamk_f32 s1, s2, 0x4f800000, s1
	v_mov_b32_e32 v15, v2
	v_s_rcp_f32 s1, s1
	s_delay_alu instid0(VALU_DEP_2) | instskip(NEXT) | instid1(VALU_DEP_3)
	v_xor_b32_e32 v8, v6, v4
	v_xor_b32_e32 v14, v7, v4
	;; [unrolled: 1-line block ×3, first 2 shown]
	s_delay_alu instid0(TRANS32_DEP_1) | instskip(NEXT) | instid1(SALU_CYCLE_3)
	s_mul_f32 s1, s1, 0x5f7ffffc
	s_mul_f32 s2, s1, 0x2f800000
	s_delay_alu instid0(SALU_CYCLE_3) | instskip(NEXT) | instid1(SALU_CYCLE_3)
	s_trunc_f32 s2, s2
	s_fmamk_f32 s1, s2, 0xcf800000, s1
	s_cvt_u32_f32 s53, s2
	s_delay_alu instid0(SALU_CYCLE_2) | instskip(NEXT) | instid1(SALU_CYCLE_3)
	s_cvt_u32_f32 s52, s1
	s_mul_u64 s[56:57], s[54:55], s[52:53]
	s_delay_alu instid0(SALU_CYCLE_1)
	s_mul_hi_u32 s59, s52, s57
	s_mul_i32 s58, s52, s57
	s_mul_hi_u32 s2, s52, s56
	s_mul_i32 s37, s53, s56
	s_add_nc_u64 s[58:59], s[2:3], s[58:59]
	s_mul_hi_u32 s1, s53, s56
	s_mul_hi_u32 s43, s53, s57
	s_add_co_u32 s2, s58, s37
	s_add_co_ci_u32 s2, s59, s1
	s_mul_i32 s56, s53, s57
	s_add_co_ci_u32 s57, s43, 0
	s_delay_alu instid0(SALU_CYCLE_1) | instskip(NEXT) | instid1(SALU_CYCLE_1)
	s_add_nc_u64 s[56:57], s[2:3], s[56:57]
	s_add_co_u32 s52, s52, s56
	s_cselect_b32 s1, -1, 0
	s_delay_alu instid0(SALU_CYCLE_1) | instskip(SKIP_1) | instid1(SALU_CYCLE_1)
	s_cmp_lg_u32 s1, 0
	s_add_co_ci_u32 s53, s53, s57
	s_mul_u64 s[54:55], s[54:55], s[52:53]
	s_delay_alu instid0(SALU_CYCLE_1)
	s_mul_hi_u32 s57, s52, s55
	s_mul_i32 s56, s52, s55
	s_mul_hi_u32 s2, s52, s54
	s_mul_i32 s37, s53, s54
	s_add_nc_u64 s[56:57], s[2:3], s[56:57]
	s_mul_hi_u32 s1, s53, s54
	s_mul_hi_u32 s43, s53, s55
	s_add_co_u32 s2, s56, s37
	s_add_co_ci_u32 s2, s57, s1
	s_mul_i32 s54, s53, s55
	s_add_co_ci_u32 s55, s43, 0
	s_delay_alu instid0(SALU_CYCLE_1) | instskip(NEXT) | instid1(SALU_CYCLE_1)
	s_add_nc_u64 s[54:55], s[2:3], s[54:55]
	s_add_co_u32 s52, s52, s54
	s_cselect_b32 s1, -1, 0
	v_mul_hi_u32 v18, v8, s52
	s_cmp_lg_u32 s1, 0
	s_add_co_ci_u32 s2, s53, s55
	s_and_b64 s[54:55], s[52:53], s[34:35]
	v_mul_u64_e32 v[12:13], s[2:3], v[8:9]
	v_mul_u64_e32 v[6:7], s[54:55], v[14:15]
	;; [unrolled: 1-line block ×3, first 2 shown]
	s_delay_alu instid0(VALU_DEP_3) | instskip(NEXT) | instid1(VALU_DEP_1)
	v_add_nc_u64_e32 v[12:13], v[18:19], v[12:13]
	v_add_co_u32 v3, vcc_lo, v12, v6
	s_delay_alu instid0(VALU_DEP_2) | instskip(NEXT) | instid1(VALU_DEP_4)
	v_add_co_ci_u32_e32 v18, vcc_lo, v13, v7, vcc_lo
	v_add_co_ci_u32_e32 v17, vcc_lo, 0, v17, vcc_lo
	s_delay_alu instid0(VALU_DEP_1) | instskip(NEXT) | instid1(VALU_DEP_1)
	v_add_nc_u64_e32 v[6:7], v[18:19], v[16:17]
	v_mul_u64_e32 v[12:13], s[40:41], v[6:7]
	s_delay_alu instid0(VALU_DEP_1) | instskip(NEXT) | instid1(VALU_DEP_2)
	v_sub_nc_u32_e32 v3, v14, v13
	v_sub_co_u32 v5, vcc_lo, v8, v12
	s_delay_alu instid0(VALU_DEP_1) | instskip(NEXT) | instid1(VALU_DEP_3)
	v_sub_co_ci_u32_e64 v11, null, v14, v13, vcc_lo
	v_subrev_co_ci_u32_e64 v3, null, s41, v3, vcc_lo
	s_delay_alu instid0(VALU_DEP_3) | instskip(SKIP_1) | instid1(VALU_DEP_3)
	v_sub_co_u32 v8, s1, v5, s40
	v_add_nc_u64_e32 v[12:13], 1, v[6:7]
	v_subrev_co_ci_u32_e64 v3, null, 0, v3, s1
	s_delay_alu instid0(VALU_DEP_3) | instskip(SKIP_1) | instid1(VALU_DEP_3)
	v_cmp_le_u32_e32 vcc_lo, s40, v8
	v_cndmask_b32_e64 v8, 0, -1, vcc_lo
	v_cmp_le_u32_e32 vcc_lo, s41, v3
	v_cndmask_b32_e64 v9, 0, -1, vcc_lo
	v_cmp_le_u32_e32 vcc_lo, s40, v5
	v_cndmask_b32_e64 v5, 0, -1, vcc_lo
	v_cmp_le_u32_e32 vcc_lo, s41, v11
	v_cndmask_b32_e64 v14, 0, -1, vcc_lo
	v_cmp_eq_u32_e32 vcc_lo, s41, v3
	v_cndmask_b32_e32 v3, v9, v8, vcc_lo
	v_cmp_eq_u32_e32 vcc_lo, s41, v11
	v_add_nc_u64_e32 v[8:9], 2, v[6:7]
	v_cndmask_b32_e32 v5, v14, v5, vcc_lo
	s_delay_alu instid0(VALU_DEP_4) | instskip(NEXT) | instid1(VALU_DEP_2)
	v_cmp_ne_u32_e32 vcc_lo, 0, v3
	v_cmp_ne_u32_e64 s1, 0, v5
	s_delay_alu instid0(VALU_DEP_4) | instskip(NEXT) | instid1(VALU_DEP_1)
	v_dual_cndmask_b32 v3, v13, v9, vcc_lo :: v_dual_cndmask_b32 v5, v12, v8, vcc_lo
	v_dual_cndmask_b32 v6, v6, v5, s1 :: v_dual_mov_b32 v5, v4
	s_delay_alu instid0(VALU_DEP_1) | instskip(NEXT) | instid1(VALU_DEP_1)
	v_dual_cndmask_b32 v3, v7, v3, s1 :: v_dual_bitop2_b32 v6, v6, v4 bitop3:0x14
	v_xor_b32_e32 v7, v3, v4
	s_delay_alu instid0(VALU_DEP_1)
	v_sub_nc_u64_e32 v[4:5], v[6:7], v[4:5]
.LBB12_6:                               ;   in Loop: Header=BB12_4 Depth=1
	s_and_not1_saveexec_b32 s1, s42
	s_cbranch_execz .LBB12_8
; %bb.7:                                ;   in Loop: Header=BB12_4 Depth=1
	s_sub_co_i32 s2, 0, s14
	s_delay_alu instid0(SALU_CYCLE_1) | instskip(NEXT) | instid1(VALU_DEP_1)
	v_mul_lo_u32 v3, s2, v10
	v_mul_hi_u32 v3, v10, v3
	s_delay_alu instid0(VALU_DEP_1) | instskip(NEXT) | instid1(VALU_DEP_1)
	v_add_nc_u32_e32 v3, v10, v3
	v_mul_hi_u32 v3, v0, v3
	s_delay_alu instid0(VALU_DEP_1) | instskip(NEXT) | instid1(VALU_DEP_1)
	v_mul_lo_u32 v4, v3, s14
	v_sub_nc_u32_e32 v4, v0, v4
	s_delay_alu instid0(VALU_DEP_1) | instskip(SKIP_1) | instid1(VALU_DEP_2)
	v_subrev_nc_u32_e32 v6, s14, v4
	v_cmp_le_u32_e32 vcc_lo, s14, v4
	v_dual_cndmask_b32 v4, v4, v6 :: v_dual_add_nc_u32 v5, 1, v3
	s_delay_alu instid0(VALU_DEP_1) | instskip(NEXT) | instid1(VALU_DEP_2)
	v_cndmask_b32_e32 v3, v3, v5, vcc_lo
	v_cmp_le_u32_e32 vcc_lo, s14, v4
	s_delay_alu instid0(VALU_DEP_2) | instskip(NEXT) | instid1(VALU_DEP_1)
	v_add_nc_u32_e32 v5, 1, v3
	v_dual_cndmask_b32 v4, v3, v5 :: v_dual_mov_b32 v5, v2
.LBB12_8:                               ;   in Loop: Header=BB12_4 Depth=1
	s_or_b32 exec_lo, exec_lo, s1
	s_delay_alu instid0(VALU_DEP_1) | instskip(SKIP_1) | instid1(VALU_DEP_1)
	v_or_b32_e32 v3, s19, v5
                                        ; implicit-def: $vgpr6_vgpr7
	s_mov_b32 s1, exec_lo
	v_cmpx_ne_u64_e32 0, v[2:3]
	s_xor_b32 s37, exec_lo, s1
	s_cbranch_execz .LBB12_10
; %bb.9:                                ;   in Loop: Header=BB12_4 Depth=1
	s_ashr_i32 s40, s19, 31
	v_dual_mov_b32 v13, v2 :: v_dual_ashrrev_i32 v6, 31, v5
	s_mov_b32 s41, s40
	s_delay_alu instid0(SALU_CYCLE_1) | instskip(NEXT) | instid1(VALU_DEP_1)
	s_add_nc_u64 s[42:43], s[18:19], s[40:41]
	v_mov_b32_e32 v7, v6
	s_xor_b64 s[42:43], s[42:43], s[40:41]
	s_delay_alu instid0(SALU_CYCLE_1)
	s_cvt_f32_u32 s1, s42
	s_cvt_f32_u32 s2, s43
	s_sub_nc_u64 s[54:55], 0, s[42:43]
	v_add_nc_u64_e32 v[8:9], v[4:5], v[6:7]
	v_mov_b32_e32 v17, v2
	s_fmamk_f32 s1, s2, 0x4f800000, s1
	s_delay_alu instid0(SALU_CYCLE_3) | instskip(NEXT) | instid1(VALU_DEP_2)
	v_s_rcp_f32 s1, s1
	v_xor_b32_e32 v12, v8, v6
	s_delay_alu instid0(VALU_DEP_3) | instskip(NEXT) | instid1(TRANS32_DEP_1)
	v_dual_mov_b32 v21, v2 :: v_dual_bitop2_b32 v16, v9, v6 bitop3:0x14
	s_mul_f32 s1, s1, 0x5f7ffffc
	s_delay_alu instid0(SALU_CYCLE_3) | instskip(NEXT) | instid1(SALU_CYCLE_3)
	s_mul_f32 s2, s1, 0x2f800000
	s_trunc_f32 s2, s2
	s_delay_alu instid0(SALU_CYCLE_3) | instskip(SKIP_1) | instid1(SALU_CYCLE_2)
	s_fmamk_f32 s1, s2, 0xcf800000, s1
	s_cvt_u32_f32 s53, s2
	s_cvt_u32_f32 s52, s1
	s_delay_alu instid0(SALU_CYCLE_3) | instskip(NEXT) | instid1(SALU_CYCLE_1)
	s_mul_u64 s[56:57], s[54:55], s[52:53]
	s_mul_hi_u32 s59, s52, s57
	s_mul_i32 s58, s52, s57
	s_mul_hi_u32 s2, s52, s56
	s_mul_i32 s41, s53, s56
	s_add_nc_u64 s[58:59], s[2:3], s[58:59]
	s_mul_hi_u32 s1, s53, s56
	s_mul_hi_u32 s60, s53, s57
	s_add_co_u32 s2, s58, s41
	s_add_co_ci_u32 s2, s59, s1
	s_mul_i32 s56, s53, s57
	s_add_co_ci_u32 s57, s60, 0
	s_delay_alu instid0(SALU_CYCLE_1) | instskip(NEXT) | instid1(SALU_CYCLE_1)
	s_add_nc_u64 s[56:57], s[2:3], s[56:57]
	s_add_co_u32 s52, s52, s56
	s_cselect_b32 s1, -1, 0
	s_delay_alu instid0(SALU_CYCLE_1) | instskip(SKIP_1) | instid1(SALU_CYCLE_1)
	s_cmp_lg_u32 s1, 0
	s_add_co_ci_u32 s53, s53, s57
	s_mul_u64 s[54:55], s[54:55], s[52:53]
	s_delay_alu instid0(SALU_CYCLE_1)
	s_mul_hi_u32 s57, s52, s55
	s_mul_i32 s56, s52, s55
	s_mul_hi_u32 s2, s52, s54
	s_mul_i32 s41, s53, s54
	s_add_nc_u64 s[56:57], s[2:3], s[56:57]
	s_mul_hi_u32 s1, s53, s54
	s_mul_hi_u32 s58, s53, s55
	s_add_co_u32 s2, s56, s41
	s_add_co_ci_u32 s2, s57, s1
	s_mul_i32 s54, s53, s55
	s_add_co_ci_u32 s55, s58, 0
	s_delay_alu instid0(SALU_CYCLE_1) | instskip(NEXT) | instid1(SALU_CYCLE_1)
	s_add_nc_u64 s[54:55], s[2:3], s[54:55]
	s_add_co_u32 s52, s52, s54
	s_cselect_b32 s1, -1, 0
	v_mul_hi_u32 v20, v12, s52
	s_cmp_lg_u32 s1, 0
	s_add_co_ci_u32 s2, s53, s55
	s_and_b64 s[54:55], s[52:53], s[34:35]
	v_mul_u64_e32 v[14:15], s[2:3], v[12:13]
	v_mul_u64_e32 v[8:9], s[54:55], v[16:17]
	v_mul_u64_e32 v[18:19], s[2:3], v[16:17]
	s_delay_alu instid0(VALU_DEP_3) | instskip(NEXT) | instid1(VALU_DEP_1)
	v_add_nc_u64_e32 v[14:15], v[20:21], v[14:15]
	v_add_co_u32 v3, vcc_lo, v14, v8
	s_delay_alu instid0(VALU_DEP_2) | instskip(NEXT) | instid1(VALU_DEP_4)
	v_add_co_ci_u32_e32 v20, vcc_lo, v15, v9, vcc_lo
	v_add_co_ci_u32_e32 v19, vcc_lo, 0, v19, vcc_lo
	s_delay_alu instid0(VALU_DEP_1) | instskip(NEXT) | instid1(VALU_DEP_1)
	v_add_nc_u64_e32 v[8:9], v[20:21], v[18:19]
	v_mul_u64_e32 v[14:15], s[42:43], v[8:9]
	s_delay_alu instid0(VALU_DEP_1) | instskip(NEXT) | instid1(VALU_DEP_2)
	v_sub_nc_u32_e32 v3, v16, v15
	v_sub_co_u32 v7, vcc_lo, v12, v14
	s_delay_alu instid0(VALU_DEP_1) | instskip(NEXT) | instid1(VALU_DEP_3)
	v_sub_co_ci_u32_e64 v16, null, v16, v15, vcc_lo
	v_subrev_co_ci_u32_e64 v3, null, s43, v3, vcc_lo
	s_delay_alu instid0(VALU_DEP_3) | instskip(SKIP_1) | instid1(VALU_DEP_3)
	v_sub_co_u32 v11, s1, v7, s42
	v_add_nc_u64_e32 v[14:15], 1, v[8:9]
	v_subrev_co_ci_u32_e64 v3, null, 0, v3, s1
	s_delay_alu instid0(VALU_DEP_3) | instskip(SKIP_1) | instid1(VALU_DEP_3)
	v_cmp_le_u32_e32 vcc_lo, s42, v11
	v_cndmask_b32_e64 v11, 0, -1, vcc_lo
	v_cmp_le_u32_e32 vcc_lo, s43, v3
	v_cndmask_b32_e64 v12, 0, -1, vcc_lo
	;; [unrolled: 2-line block ×4, first 2 shown]
	v_cmp_eq_u32_e32 vcc_lo, s43, v3
	v_cndmask_b32_e32 v3, v12, v11, vcc_lo
	v_cmp_eq_u32_e32 vcc_lo, s43, v16
	v_add_nc_u64_e32 v[12:13], 2, v[8:9]
	v_cndmask_b32_e32 v7, v17, v7, vcc_lo
	s_delay_alu instid0(VALU_DEP_4) | instskip(NEXT) | instid1(VALU_DEP_3)
	v_cmp_ne_u32_e32 vcc_lo, 0, v3
	v_cndmask_b32_e32 v3, v15, v13, vcc_lo
	s_delay_alu instid0(VALU_DEP_3) | instskip(SKIP_1) | instid1(VALU_DEP_2)
	v_cmp_ne_u32_e64 s1, 0, v7
	v_dual_cndmask_b32 v7, v14, v12, vcc_lo :: v_dual_bitop2_b32 v6, s40, v6 bitop3:0x14
	v_cndmask_b32_e64 v3, v9, v3, s1
	s_delay_alu instid0(VALU_DEP_2) | instskip(NEXT) | instid1(VALU_DEP_2)
	v_dual_cndmask_b32 v8, v8, v7, s1 :: v_dual_mov_b32 v7, v6
	v_xor_b32_e32 v9, v3, v6
	s_delay_alu instid0(VALU_DEP_2) | instskip(NEXT) | instid1(VALU_DEP_1)
	v_xor_b32_e32 v8, v8, v6
	v_sub_nc_u64_e32 v[6:7], v[8:9], v[6:7]
.LBB12_10:                              ;   in Loop: Header=BB12_4 Depth=1
	s_and_not1_saveexec_b32 s1, s37
	s_cbranch_execz .LBB12_12
; %bb.11:                               ;   in Loop: Header=BB12_4 Depth=1
	v_cvt_f32_u32_e32 v3, s18
	s_sub_co_i32 s2, 0, s18
	s_delay_alu instid0(VALU_DEP_1) | instskip(SKIP_1) | instid1(TRANS32_DEP_1)
	v_rcp_iflag_f32_e32 v3, v3
	v_nop
	v_mul_f32_e32 v3, 0x4f7ffffe, v3
	s_delay_alu instid0(VALU_DEP_1) | instskip(NEXT) | instid1(VALU_DEP_1)
	v_cvt_u32_f32_e32 v3, v3
	v_mul_lo_u32 v6, s2, v3
	s_delay_alu instid0(VALU_DEP_1) | instskip(NEXT) | instid1(VALU_DEP_1)
	v_mul_hi_u32 v6, v3, v6
	v_add_nc_u32_e32 v3, v3, v6
	s_delay_alu instid0(VALU_DEP_1) | instskip(NEXT) | instid1(VALU_DEP_1)
	v_mul_hi_u32 v3, v4, v3
	v_mul_lo_u32 v6, v3, s18
	s_delay_alu instid0(VALU_DEP_1) | instskip(NEXT) | instid1(VALU_DEP_1)
	v_dual_add_nc_u32 v7, 1, v3 :: v_dual_sub_nc_u32 v6, v4, v6
	v_subrev_nc_u32_e32 v8, s18, v6
	v_cmp_le_u32_e32 vcc_lo, s18, v6
	s_delay_alu instid0(VALU_DEP_2) | instskip(NEXT) | instid1(VALU_DEP_1)
	v_dual_cndmask_b32 v6, v6, v8 :: v_dual_cndmask_b32 v3, v3, v7
	v_cmp_le_u32_e32 vcc_lo, s18, v6
	s_delay_alu instid0(VALU_DEP_2) | instskip(NEXT) | instid1(VALU_DEP_1)
	v_add_nc_u32_e32 v7, 1, v3
	v_dual_cndmask_b32 v6, v3, v7 :: v_dual_mov_b32 v7, v2
.LBB12_12:                              ;   in Loop: Header=BB12_4 Depth=1
	s_or_b32 exec_lo, exec_lo, s1
	s_delay_alu instid0(VALU_DEP_1) | instskip(SKIP_1) | instid1(VALU_DEP_1)
	v_or_b32_e32 v3, s17, v7
                                        ; implicit-def: $vgpr8_vgpr9
	s_mov_b32 s1, exec_lo
	v_cmpx_ne_u64_e32 0, v[2:3]
	s_xor_b32 s37, exec_lo, s1
	s_cbranch_execz .LBB12_14
; %bb.13:                               ;   in Loop: Header=BB12_4 Depth=1
	s_ashr_i32 s40, s17, 31
	v_dual_mov_b32 v15, v2 :: v_dual_ashrrev_i32 v8, 31, v7
	s_mov_b32 s41, s40
	v_mov_b32_e32 v19, v2
	s_add_nc_u64 s[42:43], s[16:17], s[40:41]
	s_delay_alu instid0(VALU_DEP_2)
	v_mov_b32_e32 v9, v8
	s_xor_b64 s[42:43], s[42:43], s[40:41]
	v_mov_b32_e32 v23, v2
	s_cvt_f32_u32 s1, s42
	s_cvt_f32_u32 s2, s43
	s_sub_nc_u64 s[54:55], 0, s[42:43]
	v_add_nc_u64_e32 v[12:13], v[6:7], v[8:9]
	s_delay_alu instid0(SALU_CYCLE_1) | instskip(NEXT) | instid1(SALU_CYCLE_3)
	s_fmamk_f32 s1, s2, 0x4f800000, s1
	v_s_rcp_f32 s1, s1
	s_delay_alu instid0(VALU_DEP_1) | instskip(NEXT) | instid1(VALU_DEP_2)
	v_xor_b32_e32 v14, v12, v8
	v_xor_b32_e32 v18, v13, v8
	s_delay_alu instid0(TRANS32_DEP_1) | instskip(NEXT) | instid1(SALU_CYCLE_3)
	s_mul_f32 s1, s1, 0x5f7ffffc
	s_mul_f32 s2, s1, 0x2f800000
	s_delay_alu instid0(SALU_CYCLE_3) | instskip(NEXT) | instid1(SALU_CYCLE_3)
	s_trunc_f32 s2, s2
	s_fmamk_f32 s1, s2, 0xcf800000, s1
	s_cvt_u32_f32 s53, s2
	s_delay_alu instid0(SALU_CYCLE_2) | instskip(NEXT) | instid1(SALU_CYCLE_3)
	s_cvt_u32_f32 s52, s1
	s_mul_u64 s[56:57], s[54:55], s[52:53]
	s_delay_alu instid0(SALU_CYCLE_1)
	s_mul_hi_u32 s59, s52, s57
	s_mul_i32 s58, s52, s57
	s_mul_hi_u32 s2, s52, s56
	s_mul_i32 s41, s53, s56
	s_add_nc_u64 s[58:59], s[2:3], s[58:59]
	s_mul_hi_u32 s1, s53, s56
	s_mul_hi_u32 s60, s53, s57
	s_add_co_u32 s2, s58, s41
	s_add_co_ci_u32 s2, s59, s1
	s_mul_i32 s56, s53, s57
	s_add_co_ci_u32 s57, s60, 0
	s_delay_alu instid0(SALU_CYCLE_1) | instskip(NEXT) | instid1(SALU_CYCLE_1)
	s_add_nc_u64 s[56:57], s[2:3], s[56:57]
	s_add_co_u32 s52, s52, s56
	s_cselect_b32 s1, -1, 0
	s_delay_alu instid0(SALU_CYCLE_1) | instskip(SKIP_1) | instid1(SALU_CYCLE_1)
	s_cmp_lg_u32 s1, 0
	s_add_co_ci_u32 s53, s53, s57
	s_mul_u64 s[54:55], s[54:55], s[52:53]
	s_delay_alu instid0(SALU_CYCLE_1)
	s_mul_hi_u32 s57, s52, s55
	s_mul_i32 s56, s52, s55
	s_mul_hi_u32 s2, s52, s54
	s_mul_i32 s41, s53, s54
	s_add_nc_u64 s[56:57], s[2:3], s[56:57]
	s_mul_hi_u32 s1, s53, s54
	s_mul_hi_u32 s58, s53, s55
	s_add_co_u32 s2, s56, s41
	s_add_co_ci_u32 s2, s57, s1
	s_mul_i32 s54, s53, s55
	s_add_co_ci_u32 s55, s58, 0
	s_delay_alu instid0(SALU_CYCLE_1) | instskip(NEXT) | instid1(SALU_CYCLE_1)
	s_add_nc_u64 s[54:55], s[2:3], s[54:55]
	s_add_co_u32 s52, s52, s54
	s_cselect_b32 s1, -1, 0
	v_mul_hi_u32 v22, v14, s52
	s_cmp_lg_u32 s1, 0
	s_add_co_ci_u32 s2, s53, s55
	s_and_b64 s[54:55], s[52:53], s[34:35]
	v_mul_u64_e32 v[16:17], s[2:3], v[14:15]
	v_mul_u64_e32 v[12:13], s[54:55], v[18:19]
	;; [unrolled: 1-line block ×3, first 2 shown]
	s_delay_alu instid0(VALU_DEP_3) | instskip(NEXT) | instid1(VALU_DEP_1)
	v_add_nc_u64_e32 v[16:17], v[22:23], v[16:17]
	v_add_co_u32 v3, vcc_lo, v16, v12
	s_delay_alu instid0(VALU_DEP_2) | instskip(NEXT) | instid1(VALU_DEP_4)
	v_add_co_ci_u32_e32 v22, vcc_lo, v17, v13, vcc_lo
	v_add_co_ci_u32_e32 v21, vcc_lo, 0, v21, vcc_lo
	s_delay_alu instid0(VALU_DEP_1) | instskip(NEXT) | instid1(VALU_DEP_1)
	v_add_nc_u64_e32 v[12:13], v[22:23], v[20:21]
	v_mul_u64_e32 v[16:17], s[42:43], v[12:13]
	s_delay_alu instid0(VALU_DEP_1) | instskip(NEXT) | instid1(VALU_DEP_2)
	v_sub_nc_u32_e32 v3, v18, v17
	v_sub_co_u32 v7, vcc_lo, v14, v16
	s_delay_alu instid0(VALU_DEP_1) | instskip(NEXT) | instid1(VALU_DEP_3)
	v_sub_co_ci_u32_e64 v11, null, v18, v17, vcc_lo
	v_subrev_co_ci_u32_e64 v3, null, s43, v3, vcc_lo
	s_delay_alu instid0(VALU_DEP_3) | instskip(SKIP_1) | instid1(VALU_DEP_3)
	v_sub_co_u32 v9, s1, v7, s42
	v_add_nc_u64_e32 v[16:17], 1, v[12:13]
	v_subrev_co_ci_u32_e64 v3, null, 0, v3, s1
	s_delay_alu instid0(VALU_DEP_3) | instskip(SKIP_1) | instid1(VALU_DEP_3)
	v_cmp_le_u32_e32 vcc_lo, s42, v9
	v_cndmask_b32_e64 v9, 0, -1, vcc_lo
	v_cmp_le_u32_e32 vcc_lo, s43, v3
	v_cndmask_b32_e64 v14, 0, -1, vcc_lo
	;; [unrolled: 2-line block ×4, first 2 shown]
	v_cmp_eq_u32_e32 vcc_lo, s43, v3
	v_cndmask_b32_e32 v3, v14, v9, vcc_lo
	v_cmp_eq_u32_e32 vcc_lo, s43, v11
	v_add_nc_u64_e32 v[14:15], 2, v[12:13]
	v_cndmask_b32_e32 v7, v18, v7, vcc_lo
	s_delay_alu instid0(VALU_DEP_4) | instskip(NEXT) | instid1(VALU_DEP_2)
	v_cmp_ne_u32_e32 vcc_lo, 0, v3
	v_cmp_ne_u32_e64 s1, 0, v7
	s_delay_alu instid0(VALU_DEP_4) | instskip(NEXT) | instid1(VALU_DEP_1)
	v_dual_cndmask_b32 v3, v17, v15, vcc_lo :: v_dual_cndmask_b32 v7, v16, v14, vcc_lo
	v_dual_cndmask_b32 v3, v13, v3, s1 :: v_dual_bitop2_b32 v8, s40, v8 bitop3:0x14
	s_delay_alu instid0(VALU_DEP_1) | instskip(NEXT) | instid1(VALU_DEP_1)
	v_dual_cndmask_b32 v7, v12, v7, s1 :: v_dual_bitop2_b32 v13, v3, v8 bitop3:0x14
	v_dual_mov_b32 v9, v8 :: v_dual_bitop2_b32 v12, v7, v8 bitop3:0x14
	s_delay_alu instid0(VALU_DEP_1)
	v_sub_nc_u64_e32 v[8:9], v[12:13], v[8:9]
.LBB12_14:                              ;   in Loop: Header=BB12_4 Depth=1
	s_and_not1_saveexec_b32 s1, s37
	s_cbranch_execz .LBB12_16
; %bb.15:                               ;   in Loop: Header=BB12_4 Depth=1
	v_cvt_f32_u32_e32 v3, s16
	s_sub_co_i32 s2, 0, s16
	s_delay_alu instid0(VALU_DEP_1) | instskip(SKIP_1) | instid1(TRANS32_DEP_1)
	v_rcp_iflag_f32_e32 v3, v3
	v_nop
	v_mul_f32_e32 v3, 0x4f7ffffe, v3
	s_delay_alu instid0(VALU_DEP_1) | instskip(NEXT) | instid1(VALU_DEP_1)
	v_cvt_u32_f32_e32 v3, v3
	v_mul_lo_u32 v7, s2, v3
	s_delay_alu instid0(VALU_DEP_1) | instskip(NEXT) | instid1(VALU_DEP_1)
	v_mul_hi_u32 v7, v3, v7
	v_add_nc_u32_e32 v3, v3, v7
	s_delay_alu instid0(VALU_DEP_1) | instskip(NEXT) | instid1(VALU_DEP_1)
	v_mul_hi_u32 v3, v6, v3
	v_mul_lo_u32 v7, v3, s16
	s_delay_alu instid0(VALU_DEP_1) | instskip(NEXT) | instid1(VALU_DEP_1)
	v_sub_nc_u32_e32 v7, v6, v7
	v_subrev_nc_u32_e32 v9, s16, v7
	v_cmp_le_u32_e32 vcc_lo, s16, v7
	s_delay_alu instid0(VALU_DEP_2) | instskip(NEXT) | instid1(VALU_DEP_1)
	v_dual_cndmask_b32 v7, v7, v9 :: v_dual_add_nc_u32 v8, 1, v3
	v_dual_cndmask_b32 v3, v3, v8, vcc_lo :: v_dual_mov_b32 v9, v2
	s_delay_alu instid0(VALU_DEP_2) | instskip(NEXT) | instid1(VALU_DEP_2)
	v_cmp_le_u32_e32 vcc_lo, s16, v7
	v_add_nc_u32_e32 v8, 1, v3
	s_delay_alu instid0(VALU_DEP_1)
	v_cndmask_b32_e32 v8, v3, v8, vcc_lo
.LBB12_16:                              ;   in Loop: Header=BB12_4 Depth=1
	s_or_b32 exec_lo, exec_lo, s1
	s_delay_alu instid0(VALU_DEP_1) | instskip(SKIP_2) | instid1(VALU_DEP_2)
	v_mul_lo_u32 v3, v8, s16
	v_mov_b32_e32 v7, 0
	s_mov_b32 s1, exec_lo
	v_dual_sub_nc_u32 v11, v6, v3 :: v_dual_mov_b32 v3, 0
	s_delay_alu instid0(VALU_DEP_1)
	v_cmpx_le_i32_e64 s6, v11
	s_cbranch_execz .LBB12_18
; %bb.17:                               ;   in Loop: Header=BB12_4 Depth=1
	v_subrev_nc_u32_e32 v12, s6, v11
	v_mov_b32_e32 v13, v2
	s_delay_alu instid0(VALU_DEP_1) | instskip(NEXT) | instid1(VALU_DEP_1)
	v_mul_u64_e32 v[14:15], s[28:29], v[12:13]
	v_mul_lo_u32 v7, v15, s33
	s_delay_alu instid0(VALU_DEP_1) | instskip(NEXT) | instid1(VALU_DEP_1)
	v_sub_nc_u32_e32 v7, v12, v7
	v_subrev_nc_u32_e32 v13, s33, v7
	v_cmp_le_u32_e32 vcc_lo, s33, v7
	s_delay_alu instid0(VALU_DEP_2) | instskip(NEXT) | instid1(VALU_DEP_1)
	v_dual_cndmask_b32 v7, v7, v13 :: v_dual_add_nc_u32 v12, 1, v15
	v_cndmask_b32_e32 v12, v15, v12, vcc_lo
	s_delay_alu instid0(VALU_DEP_2) | instskip(NEXT) | instid1(VALU_DEP_2)
	v_cmp_le_u32_e32 vcc_lo, s33, v7
	v_add_nc_u32_e32 v13, 1, v12
	s_delay_alu instid0(VALU_DEP_1) | instskip(NEXT) | instid1(VALU_DEP_1)
	v_cndmask_b32_e32 v7, v12, v13, vcc_lo
	v_xor_b32_e32 v7, s47, v7
	s_delay_alu instid0(VALU_DEP_1) | instskip(NEXT) | instid1(VALU_DEP_1)
	v_subrev_nc_u32_e32 v7, s47, v7
	v_add_nc_u32_e32 v7, 1, v7
.LBB12_18:                              ;   in Loop: Header=BB12_4 Depth=1
	s_or_b32 exec_lo, exec_lo, s1
	v_mul_lo_u32 v6, v6, s18
	s_mov_b32 s1, exec_lo
	s_delay_alu instid0(VALU_DEP_1) | instskip(NEXT) | instid1(VALU_DEP_1)
	v_sub_nc_u32_e32 v12, v4, v6
	v_cmpx_le_i32_e64 s7, v12
	s_cbranch_execz .LBB12_20
; %bb.19:                               ;   in Loop: Header=BB12_4 Depth=1
	v_subrev_nc_u32_e32 v14, s7, v12
	v_mov_b32_e32 v15, v2
	s_delay_alu instid0(VALU_DEP_1) | instskip(NEXT) | instid1(VALU_DEP_1)
	v_mul_u64_e32 v[16:17], s[30:31], v[14:15]
	v_mul_lo_u32 v3, v17, s44
	s_delay_alu instid0(VALU_DEP_1) | instskip(NEXT) | instid1(VALU_DEP_1)
	v_dual_add_nc_u32 v6, 1, v17 :: v_dual_sub_nc_u32 v3, v14, v3
	v_cmp_le_u32_e32 vcc_lo, s44, v3
	s_delay_alu instid0(VALU_DEP_2) | instskip(SKIP_1) | instid1(VALU_DEP_1)
	v_cndmask_b32_e32 v6, v17, v6, vcc_lo
	v_subrev_nc_u32_e32 v13, s44, v3
	v_dual_cndmask_b32 v3, v3, v13, vcc_lo :: v_dual_add_nc_u32 v13, 1, v6
	s_delay_alu instid0(VALU_DEP_1) | instskip(NEXT) | instid1(VALU_DEP_2)
	v_cmp_le_u32_e32 vcc_lo, s44, v3
	v_cndmask_b32_e32 v3, v6, v13, vcc_lo
	s_delay_alu instid0(VALU_DEP_1) | instskip(NEXT) | instid1(VALU_DEP_1)
	v_xor_b32_e32 v3, s48, v3
	v_subrev_nc_u32_e32 v3, s48, v3
	s_delay_alu instid0(VALU_DEP_1)
	v_add_nc_u32_e32 v3, 1, v3
.LBB12_20:                              ;   in Loop: Header=BB12_4 Depth=1
	s_or_b32 exec_lo, exec_lo, s1
	v_dual_mov_b32 v15, v2 :: v_dual_sub_nc_u32 v6, 0, v11
	s_mov_b32 s37, exec_lo
	s_delay_alu instid0(VALU_DEP_1) | instskip(NEXT) | instid1(VALU_DEP_1)
	v_max_i32_e32 v14, v11, v6
	v_mul_u64_e32 v[16:17], s[28:29], v[14:15]
	s_delay_alu instid0(VALU_DEP_1) | instskip(NEXT) | instid1(VALU_DEP_1)
	v_mul_lo_u32 v6, v17, s33
	v_dual_add_nc_u32 v13, 1, v17 :: v_dual_sub_nc_u32 v6, v14, v6
	s_delay_alu instid0(VALU_DEP_1) | instskip(NEXT) | instid1(VALU_DEP_2)
	v_cmp_le_u32_e32 vcc_lo, s33, v6
	v_cndmask_b32_e32 v13, v17, v13, vcc_lo
	v_subrev_nc_u32_e32 v14, s33, v6
	s_delay_alu instid0(VALU_DEP_1) | instskip(NEXT) | instid1(VALU_DEP_1)
	v_dual_cndmask_b32 v6, v6, v14 :: v_dual_ashrrev_i32 v11, 31, v11
	v_dual_add_nc_u32 v14, 1, v13 :: v_dual_bitop2_b32 v11, s47, v11 bitop3:0x14
	s_delay_alu instid0(VALU_DEP_2) | instskip(NEXT) | instid1(VALU_DEP_2)
	v_cmp_le_u32_e32 vcc_lo, s33, v6
	v_cndmask_b32_e32 v6, v13, v14, vcc_lo
	s_delay_alu instid0(VALU_DEP_1) | instskip(NEXT) | instid1(VALU_DEP_1)
	v_xor_b32_e32 v6, v6, v11
	v_dual_mov_b32 v11, 0 :: v_dual_sub_nc_u32 v6, v6, v11
	s_delay_alu instid0(VALU_DEP_1) | instskip(NEXT) | instid1(VALU_DEP_1)
	v_add_min_i32_e64 v6, v6, 1, s4
	v_cmpx_lt_i32_e64 v7, v6
	s_cbranch_execz .LBB12_3
; %bb.21:                               ;   in Loop: Header=BB12_4 Depth=1
	v_dual_sub_nc_u32 v11, 0, v12 :: v_dual_mov_b32 v15, v2
	v_mul_u64_e32 v[18:19], s[38:39], v[8:9]
	v_mul_u64_e32 v[4:5], s[14:15], v[4:5]
	s_mov_b32 s40, 0
	s_delay_alu instid0(VALU_DEP_3) | instskip(NEXT) | instid1(VALU_DEP_1)
	v_max_i32_e32 v14, v12, v11
	v_mul_u64_e32 v[16:17], s[30:31], v[14:15]
	s_delay_alu instid0(VALU_DEP_3) | instskip(NEXT) | instid1(VALU_DEP_2)
	v_sub_nc_u64_e32 v[4:5], v[0:1], v[4:5]
	v_mul_lo_u32 v11, v17, s44
	s_delay_alu instid0(VALU_DEP_1) | instskip(NEXT) | instid1(VALU_DEP_1)
	v_dual_add_nc_u32 v9, 1, v17 :: v_dual_sub_nc_u32 v8, v14, v11
	v_cmp_le_u32_e32 vcc_lo, s44, v8
	s_delay_alu instid0(VALU_DEP_2) | instskip(SKIP_3) | instid1(VALU_DEP_3)
	v_cndmask_b32_e32 v9, v17, v9, vcc_lo
	v_subrev_nc_u32_e32 v11, s44, v8
	v_ashrrev_i32_e32 v12, 31, v12
	v_lshl_add_u64 v[16:17], v[18:19], 2, s[12:13]
	v_dual_cndmask_b32 v8, v8, v11 :: v_dual_add_nc_u32 v11, 1, v9
	s_delay_alu instid0(VALU_DEP_3) | instskip(NEXT) | instid1(VALU_DEP_3)
	v_xor_b32_e32 v12, s48, v12
	v_lshl_add_u64 v[4:5], v[4:5], 2, v[16:17]
	s_delay_alu instid0(VALU_DEP_3) | instskip(NEXT) | instid1(VALU_DEP_4)
	v_cmp_le_u32_e32 vcc_lo, s44, v8
	v_cndmask_b32_e32 v8, v9, v11, vcc_lo
	v_mul_lo_u32 v11, s9, v3
	s_delay_alu instid0(VALU_DEP_1) | instskip(NEXT) | instid1(VALU_DEP_1)
	v_dual_add_nc_u32 v13, s50, v11 :: v_dual_bitop2_b32 v8, v8, v12 bitop3:0x14
	v_dual_sub_nc_u32 v9, v8, v12 :: v_dual_sub_nc_u32 v14, s11, v11
	v_mul_lo_u32 v8, s5, v7
	v_dual_mov_b32 v11, 0 :: v_dual_add_nc_u32 v12, s49, v11
	s_delay_alu instid0(VALU_DEP_3) | instskip(NEXT) | instid1(VALU_DEP_1)
	v_add_min_i32_e64 v9, v9, 1, s5
	v_cmp_lt_i32_e64 s1, v3, v9
	s_branch .LBB12_24
.LBB12_22:                              ;   in Loop: Header=BB12_24 Depth=2
	s_or_b32 exec_lo, exec_lo, s42
.LBB12_23:                              ;   in Loop: Header=BB12_24 Depth=2
	s_delay_alu instid0(SALU_CYCLE_1) | instskip(NEXT) | instid1(VALU_DEP_4)
	s_or_b32 exec_lo, exec_lo, s41
	v_dual_add_nc_u32 v7, 1, v7 :: v_dual_add_nc_u32 v8, s5, v8
	s_delay_alu instid0(VALU_DEP_1) | instskip(SKIP_1) | instid1(SALU_CYCLE_1)
	v_cmp_ge_i32_e32 vcc_lo, v7, v6
	s_or_b32 s40, vcc_lo, s40
	s_and_not1_b32 exec_lo, exec_lo, s40
	s_cbranch_execz .LBB12_2
.LBB12_24:                              ;   Parent Loop BB12_4 Depth=1
                                        ; =>  This Loop Header: Depth=2
                                        ;       Child Loop BB12_27 Depth 3
	s_delay_alu instid0(VALU_DEP_1)
	s_and_saveexec_b32 s41, s1
	s_cbranch_execz .LBB12_23
; %bb.25:                               ;   in Loop: Header=BB12_24 Depth=2
	v_mul_lo_u32 v15, v7, s8
	s_mov_b32 s42, 0
	v_mov_b32_e32 v16, v13
	s_delay_alu instid0(VALU_DEP_2) | instskip(NEXT) | instid1(VALU_DEP_1)
	v_subrev_nc_u32_e32 v18, s10, v15
	v_dual_mov_b32 v15, v14 :: v_dual_max_i32 v20, 0, v18
	v_add_min_i32_e64 v19, v18, s6, s45
	s_delay_alu instid0(VALU_DEP_1) | instskip(SKIP_1) | instid1(VALU_DEP_1)
	v_dual_mov_b32 v17, v12 :: v_dual_sub_nc_u32 v18, v19, v18
	v_min_i32_e32 v21, s16, v19
	v_cmp_gt_i32_e64 s2, v21, v20
	v_dual_mov_b32 v20, v3 :: v_dual_sub_nc_u32 v19, v21, v20
	s_branch .LBB12_27
.LBB12_26:                              ;   in Loop: Header=BB12_27 Depth=3
	s_or_b32 exec_lo, exec_lo, s43
	v_dual_add_nc_u32 v20, 1, v20 :: v_dual_add_nc_u32 v17, s9, v17
	v_add_nc_u32_e32 v16, s9, v16
	v_subrev_nc_u32_e32 v15, s9, v15
	s_delay_alu instid0(VALU_DEP_3) | instskip(SKIP_1) | instid1(SALU_CYCLE_1)
	v_cmp_ge_i32_e32 vcc_lo, v20, v9
	s_or_b32 s42, vcc_lo, s42
	s_and_not1_b32 exec_lo, exec_lo, s42
	s_cbranch_execz .LBB12_22
.LBB12_27:                              ;   Parent Loop BB12_4 Depth=1
                                        ;     Parent Loop BB12_24 Depth=2
                                        ; =>    This Inner Loop Header: Depth=3
	v_dual_add_nc_u32 v22, s7, v17 :: v_dual_max_i32 v21, 0, v17
	s_delay_alu instid0(VALU_DEP_1) | instskip(NEXT) | instid1(VALU_DEP_1)
	v_min3_i32 v22, v22, s46, s18
	v_cmp_gt_i32_e32 vcc_lo, v22, v21
	s_and_b32 s52, s2, vcc_lo
	s_delay_alu instid0(SALU_CYCLE_1)
	s_and_saveexec_b32 s43, s52
	s_cbranch_execz .LBB12_26
; %bb.28:                               ;   in Loop: Header=BB12_27 Depth=3
	v_dual_add_nc_u32 v24, v8, v20 :: v_dual_sub_nc_u32 v21, v22, v21
	s_delay_alu instid0(VALU_DEP_1) | instskip(NEXT) | instid1(VALU_DEP_2)
	v_ashrrev_i32_e32 v25, 31, v24
	v_mul_lo_u32 v21, v21, v19
	s_delay_alu instid0(VALU_DEP_2) | instskip(NEXT) | instid1(VALU_DEP_1)
	v_mul_u64_e32 v[24:25], s[14:15], v[24:25]
	v_lshl_add_u64 v[24:25], v[24:25], 2, v[4:5]
	global_load_b32 v23, v[24:25], off
	s_wait_xcnt 0x0
	v_min_i32_e32 v24, s46, v16
	s_delay_alu instid0(VALU_DEP_1) | instskip(NEXT) | instid1(VALU_DEP_1)
	v_add_nc_u32_e32 v22, v24, v15
	v_mul_lo_u32 v22, v22, v18
	s_delay_alu instid0(VALU_DEP_1) | instskip(NEXT) | instid1(VALU_DEP_1)
	v_cndmask_b32_e64 v21, v21, v22, s0
	v_cndmask_b32_e64 v21, v21, s22, s23
	s_delay_alu instid0(VALU_DEP_1) | instskip(SKIP_1) | instid1(VALU_DEP_1)
	v_cvt_f32_i32_e32 v21, v21
	s_wait_loadcnt 0x0
	v_div_scale_f32 v22, null, v21, v21, v23
	s_delay_alu instid0(VALU_DEP_1) | instskip(SKIP_1) | instid1(TRANS32_DEP_1)
	v_rcp_f32_e32 v24, v22
	v_nop
	v_fma_f32 v25, -v22, v24, 1.0
	s_delay_alu instid0(VALU_DEP_1) | instskip(SKIP_1) | instid1(VALU_DEP_1)
	v_fmac_f32_e32 v24, v25, v24
	v_div_scale_f32 v25, vcc_lo, v23, v21, v23
	v_mul_f32_e32 v26, v25, v24
	s_delay_alu instid0(VALU_DEP_1) | instskip(NEXT) | instid1(VALU_DEP_1)
	v_fma_f32 v27, -v22, v26, v25
	v_fmac_f32_e32 v26, v27, v24
	s_delay_alu instid0(VALU_DEP_1) | instskip(NEXT) | instid1(VALU_DEP_1)
	v_fma_f32 v22, -v22, v26, v25
	v_div_fmas_f32 v22, v22, v24, v26
	s_delay_alu instid0(VALU_DEP_1) | instskip(NEXT) | instid1(VALU_DEP_1)
	v_div_fixup_f32 v21, v22, v21, v23
	v_add_f32_e32 v11, v11, v21
	s_branch .LBB12_26
.LBB12_29:
	s_endpgm
	.section	.rodata,"a",@progbits
	.p2align	6, 0x0
	.amdhsa_kernel _ZN2at6native12_GLOBAL__N_139avg_pool2d_backward_out_cuda_frame_nhwcIffiEEvT1_PKT_llliiiiiiiiPS4_ibb
		.amdhsa_group_segment_fixed_size 0
		.amdhsa_private_segment_fixed_size 0
		.amdhsa_kernarg_size 344
		.amdhsa_user_sgpr_count 2
		.amdhsa_user_sgpr_dispatch_ptr 0
		.amdhsa_user_sgpr_queue_ptr 0
		.amdhsa_user_sgpr_kernarg_segment_ptr 1
		.amdhsa_user_sgpr_dispatch_id 0
		.amdhsa_user_sgpr_kernarg_preload_length 0
		.amdhsa_user_sgpr_kernarg_preload_offset 0
		.amdhsa_user_sgpr_private_segment_size 0
		.amdhsa_wavefront_size32 1
		.amdhsa_uses_dynamic_stack 0
		.amdhsa_enable_private_segment 0
		.amdhsa_system_sgpr_workgroup_id_x 1
		.amdhsa_system_sgpr_workgroup_id_y 0
		.amdhsa_system_sgpr_workgroup_id_z 0
		.amdhsa_system_sgpr_workgroup_info 0
		.amdhsa_system_vgpr_workitem_id 0
		.amdhsa_next_free_vgpr 28
		.amdhsa_next_free_sgpr 61
		.amdhsa_named_barrier_count 0
		.amdhsa_reserve_vcc 1
		.amdhsa_float_round_mode_32 0
		.amdhsa_float_round_mode_16_64 0
		.amdhsa_float_denorm_mode_32 3
		.amdhsa_float_denorm_mode_16_64 3
		.amdhsa_fp16_overflow 0
		.amdhsa_memory_ordered 1
		.amdhsa_forward_progress 1
		.amdhsa_inst_pref_size 29
		.amdhsa_round_robin_scheduling 0
		.amdhsa_exception_fp_ieee_invalid_op 0
		.amdhsa_exception_fp_denorm_src 0
		.amdhsa_exception_fp_ieee_div_zero 0
		.amdhsa_exception_fp_ieee_overflow 0
		.amdhsa_exception_fp_ieee_underflow 0
		.amdhsa_exception_fp_ieee_inexact 0
		.amdhsa_exception_int_div_zero 0
	.end_amdhsa_kernel
	.section	.text._ZN2at6native12_GLOBAL__N_139avg_pool2d_backward_out_cuda_frame_nhwcIffiEEvT1_PKT_llliiiiiiiiPS4_ibb,"axG",@progbits,_ZN2at6native12_GLOBAL__N_139avg_pool2d_backward_out_cuda_frame_nhwcIffiEEvT1_PKT_llliiiiiiiiPS4_ibb,comdat
.Lfunc_end12:
	.size	_ZN2at6native12_GLOBAL__N_139avg_pool2d_backward_out_cuda_frame_nhwcIffiEEvT1_PKT_llliiiiiiiiPS4_ibb, .Lfunc_end12-_ZN2at6native12_GLOBAL__N_139avg_pool2d_backward_out_cuda_frame_nhwcIffiEEvT1_PKT_llliiiiiiiiPS4_ibb
                                        ; -- End function
	.set _ZN2at6native12_GLOBAL__N_139avg_pool2d_backward_out_cuda_frame_nhwcIffiEEvT1_PKT_llliiiiiiiiPS4_ibb.num_vgpr, 28
	.set _ZN2at6native12_GLOBAL__N_139avg_pool2d_backward_out_cuda_frame_nhwcIffiEEvT1_PKT_llliiiiiiiiPS4_ibb.num_agpr, 0
	.set _ZN2at6native12_GLOBAL__N_139avg_pool2d_backward_out_cuda_frame_nhwcIffiEEvT1_PKT_llliiiiiiiiPS4_ibb.numbered_sgpr, 61
	.set _ZN2at6native12_GLOBAL__N_139avg_pool2d_backward_out_cuda_frame_nhwcIffiEEvT1_PKT_llliiiiiiiiPS4_ibb.num_named_barrier, 0
	.set _ZN2at6native12_GLOBAL__N_139avg_pool2d_backward_out_cuda_frame_nhwcIffiEEvT1_PKT_llliiiiiiiiPS4_ibb.private_seg_size, 0
	.set _ZN2at6native12_GLOBAL__N_139avg_pool2d_backward_out_cuda_frame_nhwcIffiEEvT1_PKT_llliiiiiiiiPS4_ibb.uses_vcc, 1
	.set _ZN2at6native12_GLOBAL__N_139avg_pool2d_backward_out_cuda_frame_nhwcIffiEEvT1_PKT_llliiiiiiiiPS4_ibb.uses_flat_scratch, 0
	.set _ZN2at6native12_GLOBAL__N_139avg_pool2d_backward_out_cuda_frame_nhwcIffiEEvT1_PKT_llliiiiiiiiPS4_ibb.has_dyn_sized_stack, 0
	.set _ZN2at6native12_GLOBAL__N_139avg_pool2d_backward_out_cuda_frame_nhwcIffiEEvT1_PKT_llliiiiiiiiPS4_ibb.has_recursion, 0
	.set _ZN2at6native12_GLOBAL__N_139avg_pool2d_backward_out_cuda_frame_nhwcIffiEEvT1_PKT_llliiiiiiiiPS4_ibb.has_indirect_call, 0
	.section	.AMDGPU.csdata,"",@progbits
; Kernel info:
; codeLenInByte = 3688
; TotalNumSgprs: 63
; NumVgprs: 28
; ScratchSize: 0
; MemoryBound: 0
; FloatMode: 240
; IeeeMode: 1
; LDSByteSize: 0 bytes/workgroup (compile time only)
; SGPRBlocks: 0
; VGPRBlocks: 1
; NumSGPRsForWavesPerEU: 63
; NumVGPRsForWavesPerEU: 28
; NamedBarCnt: 0
; Occupancy: 16
; WaveLimiterHint : 0
; COMPUTE_PGM_RSRC2:SCRATCH_EN: 0
; COMPUTE_PGM_RSRC2:USER_SGPR: 2
; COMPUTE_PGM_RSRC2:TRAP_HANDLER: 0
; COMPUTE_PGM_RSRC2:TGID_X_EN: 1
; COMPUTE_PGM_RSRC2:TGID_Y_EN: 0
; COMPUTE_PGM_RSRC2:TGID_Z_EN: 0
; COMPUTE_PGM_RSRC2:TIDIG_COMP_CNT: 0
	.section	.text._ZN2at6native12_GLOBAL__N_134avg_pool2d_backward_out_cuda_frameIffiEEvT1_PKT_llllliiiiiiPS4_ibb,"axG",@progbits,_ZN2at6native12_GLOBAL__N_134avg_pool2d_backward_out_cuda_frameIffiEEvT1_PKT_llllliiiiiiPS4_ibb,comdat
	.globl	_ZN2at6native12_GLOBAL__N_134avg_pool2d_backward_out_cuda_frameIffiEEvT1_PKT_llllliiiiiiPS4_ibb ; -- Begin function _ZN2at6native12_GLOBAL__N_134avg_pool2d_backward_out_cuda_frameIffiEEvT1_PKT_llllliiiiiiPS4_ibb
	.p2align	8
	.type	_ZN2at6native12_GLOBAL__N_134avg_pool2d_backward_out_cuda_frameIffiEEvT1_PKT_llllliiiiiiPS4_ibb,@function
_ZN2at6native12_GLOBAL__N_134avg_pool2d_backward_out_cuda_frameIffiEEvT1_PKT_llllliiiiiiPS4_ibb: ; @_ZN2at6native12_GLOBAL__N_134avg_pool2d_backward_out_cuda_frameIffiEEvT1_PKT_llllliiiiiiPS4_ibb
; %bb.0:
	s_clause 0x1
	s_load_b32 s20, s[0:1], 0x0
	s_load_b32 s2, s[0:1], 0x6c
	s_bfe_u32 s3, ttmp6, 0x4000c
	v_mov_b32_e32 v2, 0
	s_add_co_i32 s3, s3, 1
	s_and_b32 s4, ttmp6, 15
	s_mul_i32 s3, ttmp9, s3
	s_getreg_b32 s5, hwreg(HW_REG_IB_STS2, 6, 4)
	v_mov_b32_e32 v1, v2
	s_add_co_i32 s4, s4, s3
	s_mov_b32 s23, 0
	s_wait_kmcnt 0x0
	s_ashr_i32 s21, s20, 31
	s_and_b32 s22, s2, 0xffff
	s_cmp_eq_u32 s5, 0
	s_cselect_b32 s2, ttmp9, s4
	s_delay_alu instid0(SALU_CYCLE_1) | instskip(SKIP_1) | instid1(VALU_DEP_1)
	v_mad_nc_u64_u32 v[0:1], s22, s2, v[0:1]
	s_mov_b32 s2, exec_lo
	v_cmpx_gt_i64_e64 s[20:21], v[0:1]
	s_cbranch_execz .LBB13_25
; %bb.1:
	s_clause 0x3
	s_load_b64 s[24:25], s[0:1], 0x58
	s_load_b256 s[4:11], s[0:1], 0x18
	s_load_b32 s26, s[0:1], 0x5c
	s_load_b256 s[12:19], s[0:1], 0x38
	s_add_nc_u64 s[2:3], s[0:1], 0x60
	s_mov_b32 s31, s23
	s_load_b32 s28, s[2:3], 0x0
	s_mov_b32 s35, s23
	s_mov_b64 s[40:41], 0xffffffff
	s_mov_b32 s53, 0
	s_wait_kmcnt 0x0
	s_bitcmp1_b32 s25, 0
	v_cvt_f32_u32_e32 v3, s6
	s_cselect_b32 s2, -1, 0
	s_bitcmp1_b32 s26, 8
	s_cselect_b32 s3, -1, 0
	s_delay_alu instid0(VALU_DEP_1)
	v_rcp_iflag_f32_e32 v3, v3
	s_abs_i32 s25, s14
	s_abs_i32 s33, s15
	s_cvt_f32_u32 s26, s25
	s_cvt_f32_u32 s29, s33
	s_mul_i32 s28, s28, s22
	s_sub_co_i32 s22, 0, s6
	v_nop
	v_mul_f32_e32 v3, 0x4f7ffffe, v3
	v_rcp_iflag_f32_e32 v4, s26
	s_load_b64 s[26:27], s[0:1], 0x8
	v_rcp_iflag_f32_e32 v5, s29
	s_sub_co_i32 s30, 0, s33
	v_cvt_u32_f32_e32 v3, v3
	s_mov_b32 s29, s23
	s_add_co_i32 s48, s16, s4
	s_wait_xcnt 0x0
	v_readfirstlane_b32 s0, v4
	s_add_co_i32 s49, s17, s6
	v_mul_lo_u32 v4, s22, v3
	v_readfirstlane_b32 s1, v5
	s_sub_co_i32 s22, 0, s25
	s_mul_f32 s0, s0, 0x4f7ffffe
	s_ashr_i32 s50, s14, 31
	s_ashr_i32 s51, s15, 31
	s_mul_f32 s1, s1, 0x4f7ffffe
	s_cvt_u32_f32 s0, s0
	s_lshl_b64 s[36:37], s[8:9], 2
	s_lshl_b64 s[38:39], s[10:11], 2
	s_cvt_u32_f32 s1, s1
	v_mul_hi_u32 v4, v3, v4
	s_mul_i32 s22, s22, s0
	s_sub_co_i32 s9, 0, s17
	s_mul_i32 s34, s30, s1
	s_mul_hi_u32 s22, s0, s22
	s_sub_co_i32 s52, s13, s17
	s_add_co_i32 s30, s0, s22
	s_mul_hi_u32 s0, s1, s34
	s_ashr_i32 s42, s7, 31
	s_add_co_i32 s34, s1, s0
	s_ashr_i32 s44, s5, 31
	v_add_nc_u32_e32 v12, v3, v4
	s_branch .LBB13_4
.LBB13_2:                               ;   in Loop: Header=BB13_4 Depth=1
	s_or_b32 exec_lo, exec_lo, s43
.LBB13_3:                               ;   in Loop: Header=BB13_4 Depth=1
	s_delay_alu instid0(SALU_CYCLE_1)
	s_or_b32 exec_lo, exec_lo, s22
	v_lshl_add_u64 v[4:5], v[0:1], 2, s[18:19]
	v_add_nc_u64_e32 v[0:1], s[28:29], v[0:1]
	global_store_b32 v[4:5], v7, off
	v_cmp_le_i64_e32 vcc_lo, s[20:21], v[0:1]
	s_or_b32 s53, vcc_lo, s53
	s_wait_xcnt 0x0
	s_and_not1_b32 exec_lo, exec_lo, s53
	s_cbranch_execz .LBB13_25
.LBB13_4:                               ; =>This Loop Header: Depth=1
                                        ;     Child Loop BB13_20 Depth 2
                                        ;       Child Loop BB13_23 Depth 3
	v_or_b32_e32 v3, s7, v1
                                        ; implicit-def: $vgpr4_vgpr5
	s_mov_b32 s0, exec_lo
	s_delay_alu instid0(VALU_DEP_1)
	v_cmpx_ne_u64_e32 0, v[2:3]
	s_xor_b32 s1, exec_lo, s0
	s_cbranch_execz .LBB13_6
; %bb.5:                                ;   in Loop: Header=BB13_4 Depth=1
	s_mov_b32 s43, s42
	v_dual_mov_b32 v9, v2 :: v_dual_ashrrev_i32 v4, 31, v1
	s_add_nc_u64 s[46:47], s[6:7], s[42:43]
	v_mov_b32_e32 v19, v2
	s_xor_b64 s[46:47], s[46:47], s[42:43]
	s_delay_alu instid0(VALU_DEP_2) | instskip(SKIP_3) | instid1(VALU_DEP_1)
	v_mov_b32_e32 v5, v4
	s_cvt_f32_u32 s0, s46
	s_cvt_f32_u32 s22, s47
	s_sub_nc_u64 s[56:57], 0, s[46:47]
	v_add_nc_u64_e32 v[6:7], v[0:1], v[4:5]
	s_delay_alu instid0(SALU_CYCLE_1) | instskip(SKIP_1) | instid1(SALU_CYCLE_2)
	s_fmamk_f32 s0, s22, 0x4f800000, s0
	v_mov_b32_e32 v15, v2
	v_s_rcp_f32 s0, s0
	s_delay_alu instid0(VALU_DEP_2) | instskip(NEXT) | instid1(VALU_DEP_3)
	v_xor_b32_e32 v8, v6, v4
	v_xor_b32_e32 v14, v7, v4
	s_delay_alu instid0(TRANS32_DEP_1) | instskip(NEXT) | instid1(SALU_CYCLE_3)
	s_mul_f32 s0, s0, 0x5f7ffffc
	s_mul_f32 s22, s0, 0x2f800000
	s_delay_alu instid0(SALU_CYCLE_3) | instskip(NEXT) | instid1(SALU_CYCLE_3)
	s_trunc_f32 s22, s22
	s_fmamk_f32 s0, s22, 0xcf800000, s0
	s_cvt_u32_f32 s55, s22
	s_delay_alu instid0(SALU_CYCLE_2) | instskip(NEXT) | instid1(SALU_CYCLE_3)
	s_cvt_u32_f32 s54, s0
	s_mul_u64 s[58:59], s[56:57], s[54:55]
	s_delay_alu instid0(SALU_CYCLE_1)
	s_mul_hi_u32 s61, s54, s59
	s_mul_i32 s60, s54, s59
	s_mul_hi_u32 s22, s54, s58
	s_mul_i32 s43, s55, s58
	s_add_nc_u64 s[60:61], s[22:23], s[60:61]
	s_mul_hi_u32 s0, s55, s58
	s_mul_hi_u32 s45, s55, s59
	s_add_co_u32 s22, s60, s43
	s_add_co_ci_u32 s22, s61, s0
	s_mul_i32 s58, s55, s59
	s_add_co_ci_u32 s59, s45, 0
	s_delay_alu instid0(SALU_CYCLE_1) | instskip(NEXT) | instid1(SALU_CYCLE_1)
	s_add_nc_u64 s[58:59], s[22:23], s[58:59]
	s_add_co_u32 s54, s54, s58
	s_cselect_b32 s0, -1, 0
	s_delay_alu instid0(SALU_CYCLE_1) | instskip(SKIP_1) | instid1(SALU_CYCLE_1)
	s_cmp_lg_u32 s0, 0
	s_add_co_ci_u32 s55, s55, s59
	s_mul_u64 s[56:57], s[56:57], s[54:55]
	s_delay_alu instid0(SALU_CYCLE_1)
	s_mul_hi_u32 s59, s54, s57
	s_mul_i32 s58, s54, s57
	s_mul_hi_u32 s22, s54, s56
	s_mul_i32 s43, s55, s56
	s_add_nc_u64 s[58:59], s[22:23], s[58:59]
	s_mul_hi_u32 s0, s55, s56
	s_mul_hi_u32 s45, s55, s57
	s_add_co_u32 s22, s58, s43
	s_add_co_ci_u32 s22, s59, s0
	s_mul_i32 s56, s55, s57
	s_add_co_ci_u32 s57, s45, 0
	s_delay_alu instid0(SALU_CYCLE_1) | instskip(NEXT) | instid1(SALU_CYCLE_1)
	s_add_nc_u64 s[56:57], s[22:23], s[56:57]
	s_add_co_u32 s0, s54, s56
	s_cselect_b32 s22, -1, 0
	v_mul_hi_u32 v18, v8, s0
	s_cmp_lg_u32 s22, 0
	s_add_co_ci_u32 s22, s55, s57
	s_and_b64 s[54:55], s[0:1], s[40:41]
	v_mul_u64_e32 v[10:11], s[22:23], v[8:9]
	v_mul_u64_e32 v[6:7], s[54:55], v[14:15]
	;; [unrolled: 1-line block ×3, first 2 shown]
	s_delay_alu instid0(VALU_DEP_3) | instskip(NEXT) | instid1(VALU_DEP_1)
	v_add_nc_u64_e32 v[10:11], v[18:19], v[10:11]
	v_add_co_u32 v3, vcc_lo, v10, v6
	s_delay_alu instid0(VALU_DEP_2) | instskip(NEXT) | instid1(VALU_DEP_4)
	v_add_co_ci_u32_e32 v18, vcc_lo, v11, v7, vcc_lo
	v_add_co_ci_u32_e32 v17, vcc_lo, 0, v17, vcc_lo
	s_delay_alu instid0(VALU_DEP_1) | instskip(NEXT) | instid1(VALU_DEP_1)
	v_add_nc_u64_e32 v[6:7], v[18:19], v[16:17]
	v_mul_u64_e32 v[10:11], s[46:47], v[6:7]
	s_delay_alu instid0(VALU_DEP_1) | instskip(NEXT) | instid1(VALU_DEP_2)
	v_sub_nc_u32_e32 v3, v14, v11
	v_sub_co_u32 v5, vcc_lo, v8, v10
	s_delay_alu instid0(VALU_DEP_1) | instskip(NEXT) | instid1(VALU_DEP_3)
	v_sub_co_ci_u32_e64 v13, null, v14, v11, vcc_lo
	v_subrev_co_ci_u32_e64 v3, null, s47, v3, vcc_lo
	s_delay_alu instid0(VALU_DEP_3) | instskip(SKIP_1) | instid1(VALU_DEP_3)
	v_sub_co_u32 v8, s0, v5, s46
	v_add_nc_u64_e32 v[10:11], 1, v[6:7]
	v_subrev_co_ci_u32_e64 v3, null, 0, v3, s0
	s_delay_alu instid0(VALU_DEP_3) | instskip(SKIP_1) | instid1(VALU_DEP_3)
	v_cmp_le_u32_e32 vcc_lo, s46, v8
	v_cndmask_b32_e64 v8, 0, -1, vcc_lo
	v_cmp_le_u32_e32 vcc_lo, s47, v3
	v_cndmask_b32_e64 v9, 0, -1, vcc_lo
	;; [unrolled: 2-line block ×4, first 2 shown]
	v_cmp_eq_u32_e32 vcc_lo, s47, v3
	v_cndmask_b32_e32 v3, v9, v8, vcc_lo
	v_cmp_eq_u32_e32 vcc_lo, s47, v13
	v_add_nc_u64_e32 v[8:9], 2, v[6:7]
	v_cndmask_b32_e32 v5, v14, v5, vcc_lo
	s_delay_alu instid0(VALU_DEP_4) | instskip(NEXT) | instid1(VALU_DEP_2)
	v_cmp_ne_u32_e32 vcc_lo, 0, v3
	v_cmp_ne_u32_e64 s0, 0, v5
	s_delay_alu instid0(VALU_DEP_4) | instskip(NEXT) | instid1(VALU_DEP_1)
	v_dual_cndmask_b32 v3, v11, v9, vcc_lo :: v_dual_cndmask_b32 v5, v10, v8, vcc_lo
	v_dual_cndmask_b32 v3, v7, v3, s0 :: v_dual_bitop2_b32 v4, s42, v4 bitop3:0x14
	s_delay_alu instid0(VALU_DEP_1) | instskip(NEXT) | instid1(VALU_DEP_2)
	v_dual_cndmask_b32 v6, v6, v5, s0 :: v_dual_mov_b32 v5, v4
	v_xor_b32_e32 v7, v3, v4
	s_delay_alu instid0(VALU_DEP_2) | instskip(NEXT) | instid1(VALU_DEP_1)
	v_xor_b32_e32 v6, v6, v4
	v_sub_nc_u64_e32 v[4:5], v[6:7], v[4:5]
.LBB13_6:                               ;   in Loop: Header=BB13_4 Depth=1
	s_and_not1_saveexec_b32 s0, s1
	s_cbranch_execz .LBB13_8
; %bb.7:                                ;   in Loop: Header=BB13_4 Depth=1
	v_mul_hi_u32 v3, v0, v12
	s_delay_alu instid0(VALU_DEP_1) | instskip(NEXT) | instid1(VALU_DEP_1)
	v_mul_lo_u32 v4, v3, s6
	v_dual_add_nc_u32 v5, 1, v3 :: v_dual_sub_nc_u32 v4, v0, v4
	s_delay_alu instid0(VALU_DEP_1) | instskip(SKIP_1) | instid1(VALU_DEP_2)
	v_subrev_nc_u32_e32 v6, s6, v4
	v_cmp_le_u32_e32 vcc_lo, s6, v4
	v_dual_cndmask_b32 v4, v4, v6 :: v_dual_cndmask_b32 v3, v3, v5
	s_delay_alu instid0(VALU_DEP_1) | instskip(NEXT) | instid1(VALU_DEP_2)
	v_cmp_le_u32_e32 vcc_lo, s6, v4
	v_add_nc_u32_e32 v5, 1, v3
	s_delay_alu instid0(VALU_DEP_1)
	v_dual_cndmask_b32 v4, v3, v5 :: v_dual_mov_b32 v5, v2
.LBB13_8:                               ;   in Loop: Header=BB13_4 Depth=1
	s_or_b32 exec_lo, exec_lo, s0
	s_delay_alu instid0(VALU_DEP_1) | instskip(SKIP_1) | instid1(VALU_DEP_1)
	v_or_b32_e32 v3, s5, v5
                                        ; implicit-def: $vgpr10_vgpr11
	s_mov_b32 s0, exec_lo
	v_cmpx_ne_u64_e32 0, v[2:3]
	s_xor_b32 s1, exec_lo, s0
	s_cbranch_execz .LBB13_10
; %bb.9:                                ;   in Loop: Header=BB13_4 Depth=1
	s_mov_b32 s45, s44
	v_dual_mov_b32 v11, v2 :: v_dual_ashrrev_i32 v6, 31, v5
	s_add_nc_u64 s[46:47], s[4:5], s[44:45]
	s_delay_alu instid0(SALU_CYCLE_1) | instskip(NEXT) | instid1(VALU_DEP_1)
	s_xor_b64 s[46:47], s[46:47], s[44:45]
	v_mov_b32_e32 v7, v6
	s_cvt_f32_u32 s0, s46
	s_cvt_f32_u32 s22, s47
	s_sub_nc_u64 s[56:57], 0, s[46:47]
	s_delay_alu instid0(VALU_DEP_1) | instskip(NEXT) | instid1(SALU_CYCLE_1)
	v_add_nc_u64_e32 v[8:9], v[4:5], v[6:7]
	s_fmamk_f32 s0, s22, 0x4f800000, s0
	v_mov_b32_e32 v17, v2
	s_delay_alu instid0(SALU_CYCLE_2) | instskip(NEXT) | instid1(VALU_DEP_2)
	v_s_rcp_f32 s0, s0
	v_xor_b32_e32 v10, v8, v6
	s_delay_alu instid0(VALU_DEP_3) | instskip(NEXT) | instid1(TRANS32_DEP_1)
	v_dual_mov_b32 v21, v2 :: v_dual_bitop2_b32 v16, v9, v6 bitop3:0x14
	s_mul_f32 s0, s0, 0x5f7ffffc
	s_delay_alu instid0(SALU_CYCLE_3) | instskip(NEXT) | instid1(SALU_CYCLE_3)
	s_mul_f32 s22, s0, 0x2f800000
	s_trunc_f32 s22, s22
	s_delay_alu instid0(SALU_CYCLE_3) | instskip(SKIP_1) | instid1(SALU_CYCLE_2)
	s_fmamk_f32 s0, s22, 0xcf800000, s0
	s_cvt_u32_f32 s55, s22
	s_cvt_u32_f32 s54, s0
	s_delay_alu instid0(SALU_CYCLE_3) | instskip(NEXT) | instid1(SALU_CYCLE_1)
	s_mul_u64 s[58:59], s[56:57], s[54:55]
	s_mul_hi_u32 s61, s54, s59
	s_mul_i32 s60, s54, s59
	s_mul_hi_u32 s22, s54, s58
	s_mul_i32 s43, s55, s58
	s_add_nc_u64 s[60:61], s[22:23], s[60:61]
	s_mul_hi_u32 s0, s55, s58
	s_mul_hi_u32 s45, s55, s59
	s_add_co_u32 s22, s60, s43
	s_add_co_ci_u32 s22, s61, s0
	s_mul_i32 s58, s55, s59
	s_add_co_ci_u32 s59, s45, 0
	s_delay_alu instid0(SALU_CYCLE_1) | instskip(NEXT) | instid1(SALU_CYCLE_1)
	s_add_nc_u64 s[58:59], s[22:23], s[58:59]
	s_add_co_u32 s54, s54, s58
	s_cselect_b32 s0, -1, 0
	s_delay_alu instid0(SALU_CYCLE_1) | instskip(SKIP_1) | instid1(SALU_CYCLE_1)
	s_cmp_lg_u32 s0, 0
	s_add_co_ci_u32 s55, s55, s59
	s_mul_u64 s[56:57], s[56:57], s[54:55]
	s_delay_alu instid0(SALU_CYCLE_1)
	s_mul_hi_u32 s59, s54, s57
	s_mul_i32 s58, s54, s57
	s_mul_hi_u32 s22, s54, s56
	s_mul_i32 s43, s55, s56
	s_add_nc_u64 s[58:59], s[22:23], s[58:59]
	s_mul_hi_u32 s0, s55, s56
	s_mul_hi_u32 s45, s55, s57
	s_add_co_u32 s22, s58, s43
	s_add_co_ci_u32 s22, s59, s0
	s_mul_i32 s56, s55, s57
	s_add_co_ci_u32 s57, s45, 0
	s_delay_alu instid0(SALU_CYCLE_1) | instskip(NEXT) | instid1(SALU_CYCLE_1)
	s_add_nc_u64 s[56:57], s[22:23], s[56:57]
	s_add_co_u32 s0, s54, s56
	s_cselect_b32 s22, -1, 0
	v_mul_hi_u32 v20, v10, s0
	s_cmp_lg_u32 s22, 0
	s_add_co_ci_u32 s22, s55, s57
	s_and_b64 s[54:55], s[0:1], s[40:41]
	v_mul_u64_e32 v[14:15], s[22:23], v[10:11]
	v_mul_u64_e32 v[8:9], s[54:55], v[16:17]
	v_mul_u64_e32 v[18:19], s[22:23], v[16:17]
	s_delay_alu instid0(VALU_DEP_3) | instskip(NEXT) | instid1(VALU_DEP_1)
	v_add_nc_u64_e32 v[14:15], v[20:21], v[14:15]
	v_add_co_u32 v3, vcc_lo, v14, v8
	s_delay_alu instid0(VALU_DEP_2) | instskip(NEXT) | instid1(VALU_DEP_4)
	v_add_co_ci_u32_e32 v20, vcc_lo, v15, v9, vcc_lo
	v_add_co_ci_u32_e32 v19, vcc_lo, 0, v19, vcc_lo
	s_delay_alu instid0(VALU_DEP_1) | instskip(NEXT) | instid1(VALU_DEP_1)
	v_add_nc_u64_e32 v[8:9], v[20:21], v[18:19]
	v_mul_u64_e32 v[14:15], s[46:47], v[8:9]
	s_delay_alu instid0(VALU_DEP_1) | instskip(NEXT) | instid1(VALU_DEP_2)
	v_sub_nc_u32_e32 v3, v16, v15
	v_sub_co_u32 v5, vcc_lo, v10, v14
	s_delay_alu instid0(VALU_DEP_1) | instskip(NEXT) | instid1(VALU_DEP_3)
	v_sub_co_ci_u32_e64 v13, null, v16, v15, vcc_lo
	v_subrev_co_ci_u32_e64 v3, null, s47, v3, vcc_lo
	s_delay_alu instid0(VALU_DEP_3) | instskip(SKIP_1) | instid1(VALU_DEP_3)
	v_sub_co_u32 v7, s0, v5, s46
	v_add_nc_u64_e32 v[14:15], 1, v[8:9]
	v_subrev_co_ci_u32_e64 v3, null, 0, v3, s0
	s_delay_alu instid0(VALU_DEP_3) | instskip(SKIP_1) | instid1(VALU_DEP_3)
	v_cmp_le_u32_e32 vcc_lo, s46, v7
	v_cndmask_b32_e64 v7, 0, -1, vcc_lo
	v_cmp_le_u32_e32 vcc_lo, s47, v3
	v_cndmask_b32_e64 v10, 0, -1, vcc_lo
	;; [unrolled: 2-line block ×4, first 2 shown]
	v_cmp_eq_u32_e32 vcc_lo, s47, v3
	v_cndmask_b32_e32 v3, v10, v7, vcc_lo
	v_cmp_eq_u32_e32 vcc_lo, s47, v13
	v_add_nc_u64_e32 v[10:11], 2, v[8:9]
	v_cndmask_b32_e32 v5, v16, v5, vcc_lo
	s_delay_alu instid0(VALU_DEP_4) | instskip(NEXT) | instid1(VALU_DEP_2)
	v_cmp_ne_u32_e32 vcc_lo, 0, v3
	v_cmp_ne_u32_e64 s0, 0, v5
	s_delay_alu instid0(VALU_DEP_4) | instskip(NEXT) | instid1(VALU_DEP_1)
	v_dual_cndmask_b32 v3, v15, v11, vcc_lo :: v_dual_cndmask_b32 v5, v14, v10, vcc_lo
	v_dual_cndmask_b32 v3, v9, v3, s0 :: v_dual_bitop2_b32 v6, s44, v6 bitop3:0x14
	s_delay_alu instid0(VALU_DEP_1) | instskip(NEXT) | instid1(VALU_DEP_2)
	v_dual_cndmask_b32 v5, v8, v5, s0 :: v_dual_mov_b32 v7, v6
	v_xor_b32_e32 v9, v3, v6
	s_delay_alu instid0(VALU_DEP_2) | instskip(NEXT) | instid1(VALU_DEP_1)
	v_xor_b32_e32 v8, v5, v6
	v_sub_nc_u64_e32 v[10:11], v[8:9], v[6:7]
.LBB13_10:                              ;   in Loop: Header=BB13_4 Depth=1
	s_and_not1_saveexec_b32 s0, s1
	s_cbranch_execz .LBB13_12
; %bb.11:                               ;   in Loop: Header=BB13_4 Depth=1
	v_cvt_f32_u32_e32 v3, s4
	s_sub_co_i32 s1, 0, s4
	v_mov_b32_e32 v11, v2
	s_delay_alu instid0(VALU_DEP_2) | instskip(SKIP_1) | instid1(TRANS32_DEP_1)
	v_rcp_iflag_f32_e32 v3, v3
	v_nop
	v_mul_f32_e32 v3, 0x4f7ffffe, v3
	s_delay_alu instid0(VALU_DEP_1) | instskip(NEXT) | instid1(VALU_DEP_1)
	v_cvt_u32_f32_e32 v3, v3
	v_mul_lo_u32 v5, s1, v3
	s_delay_alu instid0(VALU_DEP_1) | instskip(NEXT) | instid1(VALU_DEP_1)
	v_mul_hi_u32 v5, v3, v5
	v_add_nc_u32_e32 v3, v3, v5
	s_delay_alu instid0(VALU_DEP_1) | instskip(NEXT) | instid1(VALU_DEP_1)
	v_mul_hi_u32 v3, v4, v3
	v_mul_lo_u32 v5, v3, s4
	s_delay_alu instid0(VALU_DEP_1) | instskip(NEXT) | instid1(VALU_DEP_1)
	v_dual_add_nc_u32 v6, 1, v3 :: v_dual_sub_nc_u32 v5, v4, v5
	v_subrev_nc_u32_e32 v7, s4, v5
	v_cmp_le_u32_e32 vcc_lo, s4, v5
	s_delay_alu instid0(VALU_DEP_2) | instskip(NEXT) | instid1(VALU_DEP_1)
	v_dual_cndmask_b32 v5, v5, v7, vcc_lo :: v_dual_cndmask_b32 v3, v3, v6, vcc_lo
	v_cmp_le_u32_e32 vcc_lo, s4, v5
	s_delay_alu instid0(VALU_DEP_2) | instskip(NEXT) | instid1(VALU_DEP_1)
	v_add_nc_u32_e32 v6, 1, v3
	v_cndmask_b32_e32 v10, v3, v6, vcc_lo
.LBB13_12:                              ;   in Loop: Header=BB13_4 Depth=1
	s_or_b32 exec_lo, exec_lo, s0
	s_delay_alu instid0(VALU_DEP_1) | instskip(SKIP_2) | instid1(VALU_DEP_2)
	v_mul_lo_u32 v3, v10, s4
	s_mov_b32 s0, exec_lo
	v_dual_mov_b32 v6, 0 :: v_dual_mov_b32 v8, 0
	v_sub_nc_u32_e32 v3, v4, v3
	s_delay_alu instid0(VALU_DEP_1) | instskip(NEXT) | instid1(VALU_DEP_1)
	v_add_nc_u32_e32 v3, s16, v3
	v_cmpx_le_i32_e64 s12, v3
	s_cbranch_execz .LBB13_14
; %bb.13:                               ;   in Loop: Header=BB13_4 Depth=1
	v_subrev_nc_u32_e32 v8, s12, v3
	v_mov_b32_e32 v9, v2
	s_delay_alu instid0(VALU_DEP_1) | instskip(NEXT) | instid1(VALU_DEP_1)
	v_mul_u64_e32 v[14:15], s[30:31], v[8:9]
	v_mul_lo_u32 v5, v15, s25
	s_delay_alu instid0(VALU_DEP_1) | instskip(NEXT) | instid1(VALU_DEP_1)
	v_sub_nc_u32_e32 v5, v8, v5
	v_subrev_nc_u32_e32 v8, s25, v5
	v_cmp_le_u32_e32 vcc_lo, s25, v5
	s_delay_alu instid0(VALU_DEP_2) | instskip(NEXT) | instid1(VALU_DEP_1)
	v_dual_add_nc_u32 v7, 1, v15 :: v_dual_cndmask_b32 v5, v5, v8, vcc_lo
	v_cndmask_b32_e32 v7, v15, v7, vcc_lo
	s_delay_alu instid0(VALU_DEP_2) | instskip(NEXT) | instid1(VALU_DEP_2)
	v_cmp_le_u32_e32 vcc_lo, s25, v5
	v_add_nc_u32_e32 v8, 1, v7
	s_delay_alu instid0(VALU_DEP_1) | instskip(NEXT) | instid1(VALU_DEP_1)
	v_cndmask_b32_e32 v5, v7, v8, vcc_lo
	v_xor_b32_e32 v5, s50, v5
	s_delay_alu instid0(VALU_DEP_1) | instskip(NEXT) | instid1(VALU_DEP_1)
	v_subrev_nc_u32_e32 v5, s50, v5
	v_add_nc_u32_e32 v8, 1, v5
.LBB13_14:                              ;   in Loop: Header=BB13_4 Depth=1
	s_or_b32 exec_lo, exec_lo, s0
	v_mul_lo_u32 v4, v4, s6
	s_mov_b32 s0, exec_lo
	s_delay_alu instid0(VALU_DEP_1) | instskip(NEXT) | instid1(VALU_DEP_1)
	v_sub_nc_u32_e32 v4, v0, v4
	v_add_nc_u32_e32 v4, s17, v4
	s_delay_alu instid0(VALU_DEP_1)
	v_cmpx_le_i32_e64 s13, v4
	s_cbranch_execz .LBB13_16
; %bb.15:                               ;   in Loop: Header=BB13_4 Depth=1
	v_subrev_nc_u32_e32 v6, s13, v4
	v_mov_b32_e32 v7, v2
	s_delay_alu instid0(VALU_DEP_1) | instskip(NEXT) | instid1(VALU_DEP_1)
	v_mul_u64_e32 v[14:15], s[34:35], v[6:7]
	v_mul_lo_u32 v5, v15, s33
	s_delay_alu instid0(VALU_DEP_1) | instskip(NEXT) | instid1(VALU_DEP_1)
	v_dual_sub_nc_u32 v5, v6, v5 :: v_dual_add_nc_u32 v6, 1, v15
	v_cmp_le_u32_e32 vcc_lo, s33, v5
	s_delay_alu instid0(VALU_DEP_2) | instskip(SKIP_1) | instid1(VALU_DEP_1)
	v_cndmask_b32_e32 v6, v15, v6, vcc_lo
	v_subrev_nc_u32_e32 v7, s33, v5
	v_dual_cndmask_b32 v5, v5, v7, vcc_lo :: v_dual_add_nc_u32 v7, 1, v6
	s_delay_alu instid0(VALU_DEP_1) | instskip(NEXT) | instid1(VALU_DEP_2)
	v_cmp_le_u32_e32 vcc_lo, s33, v5
	v_cndmask_b32_e32 v5, v6, v7, vcc_lo
	s_delay_alu instid0(VALU_DEP_1) | instskip(NEXT) | instid1(VALU_DEP_1)
	v_xor_b32_e32 v5, s51, v5
	v_subrev_nc_u32_e32 v5, s51, v5
	s_delay_alu instid0(VALU_DEP_1)
	v_add_nc_u32_e32 v6, 1, v5
.LBB13_16:                              ;   in Loop: Header=BB13_4 Depth=1
	s_or_b32 exec_lo, exec_lo, s0
	v_dual_sub_nc_u32 v5, 0, v3 :: v_dual_mov_b32 v15, v2
	s_mov_b32 s22, exec_lo
	s_delay_alu instid0(VALU_DEP_1) | instskip(NEXT) | instid1(VALU_DEP_1)
	v_dual_ashrrev_i32 v3, 31, v3 :: v_dual_max_i32 v14, v3, v5
	v_mul_u64_e32 v[16:17], s[30:31], v[14:15]
	s_delay_alu instid0(VALU_DEP_1) | instskip(SKIP_1) | instid1(VALU_DEP_1)
	v_dual_add_nc_u32 v7, 1, v17 :: v_dual_bitop2_b32 v3, s50, v3 bitop3:0x14
	v_mul_lo_u32 v5, v17, s25
	v_sub_nc_u32_e32 v5, v14, v5
	s_delay_alu instid0(VALU_DEP_1) | instskip(SKIP_2) | instid1(VALU_DEP_1)
	v_subrev_nc_u32_e32 v9, s25, v5
	v_cmp_le_u32_e32 vcc_lo, s25, v5
	v_cndmask_b32_e32 v7, v17, v7, vcc_lo
	v_dual_cndmask_b32 v5, v5, v9, vcc_lo :: v_dual_add_nc_u32 v9, 1, v7
	s_delay_alu instid0(VALU_DEP_1) | instskip(NEXT) | instid1(VALU_DEP_2)
	v_cmp_le_u32_e32 vcc_lo, s25, v5
	v_dual_cndmask_b32 v5, v7, v9, vcc_lo :: v_dual_mov_b32 v7, 0
	s_delay_alu instid0(VALU_DEP_1) | instskip(NEXT) | instid1(VALU_DEP_1)
	v_xor_b32_e32 v5, v5, v3
	v_sub_nc_u32_e32 v3, v5, v3
	s_delay_alu instid0(VALU_DEP_1) | instskip(NEXT) | instid1(VALU_DEP_1)
	v_add_min_i32_e64 v3, v3, 1, s8
	v_cmpx_lt_i32_e64 v8, v3
	s_cbranch_execz .LBB13_3
; %bb.17:                               ;   in Loop: Header=BB13_4 Depth=1
	v_dual_sub_nc_u32 v5, 0, v4 :: v_dual_mov_b32 v15, v2
	s_mov_b32 s43, 0
	s_delay_alu instid0(VALU_DEP_1) | instskip(SKIP_1) | instid1(VALU_DEP_2)
	v_dual_ashrrev_i32 v9, 31, v8 :: v_dual_max_i32 v14, v4, v5
	v_ashrrev_i32_e32 v4, 31, v4
	v_lshlrev_b64_e32 v[18:19], 2, v[8:9]
	s_delay_alu instid0(VALU_DEP_3) | instskip(NEXT) | instid1(VALU_DEP_3)
	v_mul_u64_e32 v[16:17], s[34:35], v[14:15]
	v_xor_b32_e32 v4, s51, v4
	s_delay_alu instid0(VALU_DEP_3) | instskip(NEXT) | instid1(VALU_DEP_1)
	v_mad_nc_u64_u32 v[18:19], s36, v10, v[18:19]
	v_mad_u32 v9, s37, v10, v19
	s_delay_alu instid0(VALU_DEP_1) | instskip(SKIP_1) | instid1(VALU_DEP_1)
	v_mad_u32 v9, s36, v11, v9
	v_mul_lo_u32 v5, v17, s33
	v_dual_ashrrev_i32 v7, 31, v6 :: v_dual_sub_nc_u32 v5, v14, v5
	s_delay_alu instid0(VALU_DEP_1) | instskip(SKIP_1) | instid1(VALU_DEP_3)
	v_lshlrev_b64_e32 v[20:21], 2, v[6:7]
	v_add_nc_u32_e32 v7, 1, v17
	v_subrev_nc_u32_e32 v10, s33, v5
	v_cmp_le_u32_e32 vcc_lo, s33, v5
	s_delay_alu instid0(VALU_DEP_4) | instskip(NEXT) | instid1(VALU_DEP_4)
	v_mad_nc_u64_u32 v[20:21], s10, v18, v[20:21]
	v_cndmask_b32_e32 v7, v17, v7, vcc_lo
	s_delay_alu instid0(VALU_DEP_1) | instskip(NEXT) | instid1(VALU_DEP_1)
	v_dual_cndmask_b32 v5, v5, v10 :: v_dual_add_nc_u32 v10, 1, v7
	v_cmp_le_u32_e32 vcc_lo, s33, v5
	s_delay_alu instid0(VALU_DEP_4) | instskip(NEXT) | instid1(VALU_DEP_3)
	v_mad_u32 v11, s11, v18, v21
	v_cndmask_b32_e32 v5, v7, v10, vcc_lo
	v_mul_lo_u32 v7, s15, v6
	s_delay_alu instid0(VALU_DEP_3) | instskip(NEXT) | instid1(VALU_DEP_2)
	v_mad_u32 v21, s10, v9, v11
	v_dual_add_nc_u32 v13, s9, v7 :: v_dual_bitop2_b32 v5, v5, v4 bitop3:0x14
	v_dual_add_nc_u32 v14, s52, v7 :: v_dual_sub_nc_u32 v15, s17, v7
	s_delay_alu instid0(VALU_DEP_2) | instskip(NEXT) | instid1(VALU_DEP_1)
	v_dual_mov_b32 v7, 0 :: v_dual_sub_nc_u32 v4, v5, v4
	v_add_min_i32_e64 v9, v4, 1, s10
	s_wait_kmcnt 0x0
	v_add_nc_u64_e32 v[4:5], s[26:27], v[20:21]
	s_delay_alu instid0(VALU_DEP_2)
	v_cmp_lt_i32_e64 s0, v6, v9
	s_branch .LBB13_20
.LBB13_18:                              ;   in Loop: Header=BB13_20 Depth=2
	s_or_b32 exec_lo, exec_lo, s46
.LBB13_19:                              ;   in Loop: Header=BB13_20 Depth=2
	s_delay_alu instid0(SALU_CYCLE_1) | instskip(SKIP_2) | instid1(VALU_DEP_2)
	s_or_b32 exec_lo, exec_lo, s45
	v_add_nc_u32_e32 v8, 1, v8
	v_add_nc_u64_e32 v[4:5], s[38:39], v[4:5]
	v_cmp_ge_i32_e32 vcc_lo, v8, v3
	s_or_b32 s43, vcc_lo, s43
	s_delay_alu instid0(SALU_CYCLE_1)
	s_and_not1_b32 exec_lo, exec_lo, s43
	s_cbranch_execz .LBB13_2
.LBB13_20:                              ;   Parent Loop BB13_4 Depth=1
                                        ; =>  This Loop Header: Depth=2
                                        ;       Child Loop BB13_23 Depth 3
	s_delay_alu instid0(VALU_DEP_1)
	s_and_saveexec_b32 s45, s0
	s_cbranch_execz .LBB13_19
; %bb.21:                               ;   in Loop: Header=BB13_20 Depth=2
	v_mul_lo_u32 v10, v8, s14
	s_mov_b32 s46, 0
	v_mov_b32_e32 v17, v14
	s_delay_alu instid0(VALU_DEP_2) | instskip(SKIP_2) | instid1(VALU_DEP_3)
	v_subrev_nc_u32_e32 v19, s16, v10
	v_mov_b32_e32 v16, v15
	v_mov_b64_e32 v[10:11], v[4:5]
	v_add_min_i32_e64 v20, v19, s12, s48
	v_dual_mov_b32 v18, v13 :: v_dual_max_i32 v21, 0, v19
	s_delay_alu instid0(VALU_DEP_2) | instskip(NEXT) | instid1(VALU_DEP_1)
	v_dual_sub_nc_u32 v19, v20, v19 :: v_dual_min_i32 v22, s4, v20
	v_cmp_gt_i32_e64 s1, v22, v21
	v_sub_nc_u32_e32 v20, v22, v21
	v_mov_b32_e32 v21, v6
	s_branch .LBB13_23
.LBB13_22:                              ;   in Loop: Header=BB13_23 Depth=3
	s_wait_xcnt 0x0
	s_or_b32 exec_lo, exec_lo, s47
	v_dual_add_nc_u32 v21, 1, v21 :: v_dual_add_nc_u32 v18, s15, v18
	v_add_nc_u64_e32 v[10:11], 4, v[10:11]
	v_add_nc_u32_e32 v17, s15, v17
	v_subrev_nc_u32_e32 v16, s15, v16
	s_delay_alu instid0(VALU_DEP_4) | instskip(SKIP_1) | instid1(SALU_CYCLE_1)
	v_cmp_ge_i32_e32 vcc_lo, v21, v9
	s_or_b32 s46, vcc_lo, s46
	s_and_not1_b32 exec_lo, exec_lo, s46
	s_cbranch_execz .LBB13_18
.LBB13_23:                              ;   Parent Loop BB13_4 Depth=1
                                        ;     Parent Loop BB13_20 Depth=2
                                        ; =>    This Inner Loop Header: Depth=3
	v_dual_add_nc_u32 v23, s13, v18 :: v_dual_max_i32 v22, 0, v18
	s_delay_alu instid0(VALU_DEP_1) | instskip(NEXT) | instid1(VALU_DEP_1)
	v_min3_i32 v23, v23, s49, s6
	v_cmp_gt_i32_e32 vcc_lo, v23, v22
	s_and_b32 s54, s1, vcc_lo
	s_delay_alu instid0(SALU_CYCLE_1)
	s_and_saveexec_b32 s47, s54
	s_cbranch_execz .LBB13_22
; %bb.24:                               ;   in Loop: Header=BB13_23 Depth=3
	global_load_b32 v24, v[10:11], off
	v_dual_sub_nc_u32 v22, v23, v22 :: v_dual_min_i32 v25, s49, v17
	s_delay_alu instid0(VALU_DEP_1) | instskip(NEXT) | instid1(VALU_DEP_2)
	v_add_nc_u32_e32 v23, v25, v16
	v_mul_lo_u32 v22, v22, v20
	s_delay_alu instid0(VALU_DEP_2) | instskip(NEXT) | instid1(VALU_DEP_1)
	v_mul_lo_u32 v23, v23, v19
	v_cndmask_b32_e64 v22, v22, v23, s2
	s_delay_alu instid0(VALU_DEP_1) | instskip(NEXT) | instid1(VALU_DEP_1)
	v_cndmask_b32_e64 v22, v22, s24, s3
	v_cvt_f32_i32_e32 v22, v22
	s_wait_loadcnt 0x0
	s_delay_alu instid0(VALU_DEP_1) | instskip(NEXT) | instid1(VALU_DEP_1)
	v_div_scale_f32 v23, null, v22, v22, v24
	v_rcp_f32_e32 v25, v23
	v_nop
	s_delay_alu instid0(TRANS32_DEP_1) | instskip(NEXT) | instid1(VALU_DEP_1)
	v_fma_f32 v26, -v23, v25, 1.0
	v_fmac_f32_e32 v25, v26, v25
	v_div_scale_f32 v26, vcc_lo, v24, v22, v24
	s_delay_alu instid0(VALU_DEP_1) | instskip(NEXT) | instid1(VALU_DEP_1)
	v_mul_f32_e32 v27, v26, v25
	v_fma_f32 v28, -v23, v27, v26
	s_delay_alu instid0(VALU_DEP_1) | instskip(NEXT) | instid1(VALU_DEP_1)
	v_fmac_f32_e32 v27, v28, v25
	v_fma_f32 v23, -v23, v27, v26
	s_delay_alu instid0(VALU_DEP_1) | instskip(NEXT) | instid1(VALU_DEP_1)
	v_div_fmas_f32 v23, v23, v25, v27
	v_div_fixup_f32 v22, v23, v22, v24
	s_delay_alu instid0(VALU_DEP_1)
	v_add_f32_e32 v7, v7, v22
	s_branch .LBB13_22
.LBB13_25:
	s_endpgm
	.section	.rodata,"a",@progbits
	.p2align	6, 0x0
	.amdhsa_kernel _ZN2at6native12_GLOBAL__N_134avg_pool2d_backward_out_cuda_frameIffiEEvT1_PKT_llllliiiiiiPS4_ibb
		.amdhsa_group_segment_fixed_size 0
		.amdhsa_private_segment_fixed_size 0
		.amdhsa_kernarg_size 352
		.amdhsa_user_sgpr_count 2
		.amdhsa_user_sgpr_dispatch_ptr 0
		.amdhsa_user_sgpr_queue_ptr 0
		.amdhsa_user_sgpr_kernarg_segment_ptr 1
		.amdhsa_user_sgpr_dispatch_id 0
		.amdhsa_user_sgpr_kernarg_preload_length 0
		.amdhsa_user_sgpr_kernarg_preload_offset 0
		.amdhsa_user_sgpr_private_segment_size 0
		.amdhsa_wavefront_size32 1
		.amdhsa_uses_dynamic_stack 0
		.amdhsa_enable_private_segment 0
		.amdhsa_system_sgpr_workgroup_id_x 1
		.amdhsa_system_sgpr_workgroup_id_y 0
		.amdhsa_system_sgpr_workgroup_id_z 0
		.amdhsa_system_sgpr_workgroup_info 0
		.amdhsa_system_vgpr_workitem_id 0
		.amdhsa_next_free_vgpr 29
		.amdhsa_next_free_sgpr 62
		.amdhsa_named_barrier_count 0
		.amdhsa_reserve_vcc 1
		.amdhsa_float_round_mode_32 0
		.amdhsa_float_round_mode_16_64 0
		.amdhsa_float_denorm_mode_32 3
		.amdhsa_float_denorm_mode_16_64 3
		.amdhsa_fp16_overflow 0
		.amdhsa_memory_ordered 1
		.amdhsa_forward_progress 1
		.amdhsa_inst_pref_size 24
		.amdhsa_round_robin_scheduling 0
		.amdhsa_exception_fp_ieee_invalid_op 0
		.amdhsa_exception_fp_denorm_src 0
		.amdhsa_exception_fp_ieee_div_zero 0
		.amdhsa_exception_fp_ieee_overflow 0
		.amdhsa_exception_fp_ieee_underflow 0
		.amdhsa_exception_fp_ieee_inexact 0
		.amdhsa_exception_int_div_zero 0
	.end_amdhsa_kernel
	.section	.text._ZN2at6native12_GLOBAL__N_134avg_pool2d_backward_out_cuda_frameIffiEEvT1_PKT_llllliiiiiiPS4_ibb,"axG",@progbits,_ZN2at6native12_GLOBAL__N_134avg_pool2d_backward_out_cuda_frameIffiEEvT1_PKT_llllliiiiiiPS4_ibb,comdat
.Lfunc_end13:
	.size	_ZN2at6native12_GLOBAL__N_134avg_pool2d_backward_out_cuda_frameIffiEEvT1_PKT_llllliiiiiiPS4_ibb, .Lfunc_end13-_ZN2at6native12_GLOBAL__N_134avg_pool2d_backward_out_cuda_frameIffiEEvT1_PKT_llllliiiiiiPS4_ibb
                                        ; -- End function
	.set _ZN2at6native12_GLOBAL__N_134avg_pool2d_backward_out_cuda_frameIffiEEvT1_PKT_llllliiiiiiPS4_ibb.num_vgpr, 29
	.set _ZN2at6native12_GLOBAL__N_134avg_pool2d_backward_out_cuda_frameIffiEEvT1_PKT_llllliiiiiiPS4_ibb.num_agpr, 0
	.set _ZN2at6native12_GLOBAL__N_134avg_pool2d_backward_out_cuda_frameIffiEEvT1_PKT_llllliiiiiiPS4_ibb.numbered_sgpr, 62
	.set _ZN2at6native12_GLOBAL__N_134avg_pool2d_backward_out_cuda_frameIffiEEvT1_PKT_llllliiiiiiPS4_ibb.num_named_barrier, 0
	.set _ZN2at6native12_GLOBAL__N_134avg_pool2d_backward_out_cuda_frameIffiEEvT1_PKT_llllliiiiiiPS4_ibb.private_seg_size, 0
	.set _ZN2at6native12_GLOBAL__N_134avg_pool2d_backward_out_cuda_frameIffiEEvT1_PKT_llllliiiiiiPS4_ibb.uses_vcc, 1
	.set _ZN2at6native12_GLOBAL__N_134avg_pool2d_backward_out_cuda_frameIffiEEvT1_PKT_llllliiiiiiPS4_ibb.uses_flat_scratch, 0
	.set _ZN2at6native12_GLOBAL__N_134avg_pool2d_backward_out_cuda_frameIffiEEvT1_PKT_llllliiiiiiPS4_ibb.has_dyn_sized_stack, 0
	.set _ZN2at6native12_GLOBAL__N_134avg_pool2d_backward_out_cuda_frameIffiEEvT1_PKT_llllliiiiiiPS4_ibb.has_recursion, 0
	.set _ZN2at6native12_GLOBAL__N_134avg_pool2d_backward_out_cuda_frameIffiEEvT1_PKT_llllliiiiiiPS4_ibb.has_indirect_call, 0
	.section	.AMDGPU.csdata,"",@progbits
; Kernel info:
; codeLenInByte = 3004
; TotalNumSgprs: 64
; NumVgprs: 29
; ScratchSize: 0
; MemoryBound: 0
; FloatMode: 240
; IeeeMode: 1
; LDSByteSize: 0 bytes/workgroup (compile time only)
; SGPRBlocks: 0
; VGPRBlocks: 1
; NumSGPRsForWavesPerEU: 64
; NumVGPRsForWavesPerEU: 29
; NamedBarCnt: 0
; Occupancy: 16
; WaveLimiterHint : 0
; COMPUTE_PGM_RSRC2:SCRATCH_EN: 0
; COMPUTE_PGM_RSRC2:USER_SGPR: 2
; COMPUTE_PGM_RSRC2:TRAP_HANDLER: 0
; COMPUTE_PGM_RSRC2:TGID_X_EN: 1
; COMPUTE_PGM_RSRC2:TGID_Y_EN: 0
; COMPUTE_PGM_RSRC2:TGID_Z_EN: 0
; COMPUTE_PGM_RSRC2:TIDIG_COMP_CNT: 0
	.section	.text._ZN2at6native12_GLOBAL__N_139avg_pool2d_backward_out_cuda_frame_nhwcIfflEEvT1_PKT_llliiiiiiiiPS4_ibb,"axG",@progbits,_ZN2at6native12_GLOBAL__N_139avg_pool2d_backward_out_cuda_frame_nhwcIfflEEvT1_PKT_llliiiiiiiiPS4_ibb,comdat
	.globl	_ZN2at6native12_GLOBAL__N_139avg_pool2d_backward_out_cuda_frame_nhwcIfflEEvT1_PKT_llliiiiiiiiPS4_ibb ; -- Begin function _ZN2at6native12_GLOBAL__N_139avg_pool2d_backward_out_cuda_frame_nhwcIfflEEvT1_PKT_llliiiiiiiiPS4_ibb
	.p2align	8
	.type	_ZN2at6native12_GLOBAL__N_139avg_pool2d_backward_out_cuda_frame_nhwcIfflEEvT1_PKT_llliiiiiiiiPS4_ibb,@function
_ZN2at6native12_GLOBAL__N_139avg_pool2d_backward_out_cuda_frame_nhwcIfflEEvT1_PKT_llliiiiiiiiPS4_ibb: ; @_ZN2at6native12_GLOBAL__N_139avg_pool2d_backward_out_cuda_frame_nhwcIfflEEvT1_PKT_llliiiiiiiiPS4_ibb
; %bb.0:
	s_load_b32 s2, s[0:1], 0x64
	s_bfe_u32 s4, ttmp6, 0x4000c
	v_mov_b32_e32 v2, 0
	s_add_co_i32 s13, s4, 1
	s_load_b256 s[4:11], s[0:1], 0x0
	s_and_b32 s3, ttmp6, 15
	s_mul_i32 s13, ttmp9, s13
	s_getreg_b32 s12, hwreg(HW_REG_IB_STS2, 6, 4)
	v_mov_b32_e32 v1, v2
	s_add_co_i32 s3, s3, s13
	s_wait_kmcnt 0x0
	s_and_b32 s2, s2, 0xffff
	s_cmp_eq_u32 s12, 0
	s_mov_b32 s12, exec_lo
	s_cselect_b32 s3, ttmp9, s3
	s_delay_alu instid0(SALU_CYCLE_1) | instskip(SKIP_1) | instid1(VALU_DEP_1)
	v_mad_nc_u64_u32 v[0:1], s2, s3, v[0:1]
	s_mov_b32 s3, 0
	v_cmpx_gt_i64_e64 s[4:5], v[0:1]
	s_cbranch_execz .LBB14_29
; %bb.1:
	s_clause 0x2
	s_load_b128 s[20:23], s[0:1], 0x48
	s_load_b256 s[12:19], s[0:1], 0x28
	s_load_b32 s28, s[0:1], 0x54
	v_cvt_f32_u32_e32 v3, s8
	s_add_nc_u64 s[26:27], s[0:1], 0x58
	s_load_b32 s30, s[26:27], 0x0
	s_load_b64 s[24:25], s[0:1], 0x20
	s_wait_xcnt 0x0
	s_mov_b32 s27, s3
	v_rcp_iflag_f32_e32 v3, v3
	s_mov_b32 s29, s3
	s_mov_b32 s31, s3
	s_mov_b64 s[34:35], 0xffffffff
	s_mov_b32 s51, 0
	v_nop
	s_delay_alu instid0(TRANS32_DEP_1) | instskip(NEXT) | instid1(VALU_DEP_1)
	v_mul_f32_e32 v3, 0x4f7ffffe, v3
	v_cvt_u32_f32_e32 v10, v3
	s_wait_kmcnt 0x0
	s_bitcmp1_b32 s23, 0
	s_mov_b32 s38, s12
	s_cselect_b32 s0, -1, 0
	s_bitcmp1_b32 s28, 8
	s_mul_i32 s26, s30, s2
	s_cselect_b32 s23, -1, 0
	s_abs_i32 s33, s16
	s_abs_i32 s44, s17
	s_cvt_f32_u32 s1, s33
	s_cvt_f32_u32 s28, s44
	s_sub_co_i32 s30, 0, s44
	s_ashr_i32 s39, s12, 31
	v_rcp_iflag_f32_e32 v3, s1
	v_rcp_iflag_f32_e32 v4, s28
	s_sub_co_i32 s28, 0, s33
	s_mov_b32 s40, s13
	s_ashr_i32 s41, s13, 31
	s_mul_u64 s[38:39], s[8:9], s[38:39]
	s_add_co_i32 s45, s18, s10
	v_readfirstlane_b32 s1, v3
	v_readfirstlane_b32 s2, v4
	s_add_co_i32 s46, s19, s24
	s_ashr_i32 s47, s16, 31
	s_ashr_i32 s48, s17, 31
	s_mul_f32 s1, s1, 0x4f7ffffe
	s_mul_f32 s2, s2, 0x4f7ffffe
	s_sub_co_i32 s49, 0, s19
	s_sub_co_i32 s50, s15, s19
	s_cvt_u32_f32 s1, s1
	s_cvt_u32_f32 s2, s2
	s_ashr_i32 s36, s9, 31
	s_mul_u64 s[38:39], s[38:39], s[40:41]
	s_mul_i32 s28, s28, s1
	s_mul_i32 s30, s30, s2
	s_mul_hi_u32 s28, s1, s28
	s_mul_hi_u32 s30, s2, s30
	s_add_co_i32 s28, s1, s28
	s_add_co_i32 s30, s2, s30
	s_branch .LBB14_4
.LBB14_2:                               ;   in Loop: Header=BB14_4 Depth=1
	s_or_b32 exec_lo, exec_lo, s40
.LBB14_3:                               ;   in Loop: Header=BB14_4 Depth=1
	s_delay_alu instid0(SALU_CYCLE_1)
	s_or_b32 exec_lo, exec_lo, s37
	v_lshl_add_u64 v[4:5], v[0:1], 2, s[20:21]
	v_add_nc_u64_e32 v[0:1], s[26:27], v[0:1]
	global_store_b32 v[4:5], v3, off
	v_cmp_le_i64_e32 vcc_lo, s[4:5], v[0:1]
	s_or_b32 s51, vcc_lo, s51
	s_wait_xcnt 0x0
	s_and_not1_b32 exec_lo, exec_lo, s51
	s_cbranch_execz .LBB14_29
.LBB14_4:                               ; =>This Loop Header: Depth=1
                                        ;     Child Loop BB14_24 Depth 2
                                        ;       Child Loop BB14_27 Depth 3
	v_or_b32_e32 v3, s9, v1
                                        ; implicit-def: $vgpr4_vgpr5
	s_mov_b32 s1, exec_lo
	s_delay_alu instid0(VALU_DEP_1)
	v_cmpx_ne_u64_e32 0, v[2:3]
	s_xor_b32 s42, exec_lo, s1
	s_cbranch_execz .LBB14_6
; %bb.5:                                ;   in Loop: Header=BB14_4 Depth=1
	s_mov_b32 s37, s36
	v_dual_mov_b32 v9, v2 :: v_dual_ashrrev_i32 v4, 31, v1
	s_add_nc_u64 s[40:41], s[8:9], s[36:37]
	v_mov_b32_e32 v19, v2
	s_xor_b64 s[40:41], s[40:41], s[36:37]
	s_delay_alu instid0(VALU_DEP_2) | instskip(SKIP_3) | instid1(VALU_DEP_1)
	v_mov_b32_e32 v5, v4
	s_cvt_f32_u32 s1, s40
	s_cvt_f32_u32 s2, s41
	s_sub_nc_u64 s[54:55], 0, s[40:41]
	v_add_nc_u64_e32 v[6:7], v[0:1], v[4:5]
	s_delay_alu instid0(SALU_CYCLE_1) | instskip(SKIP_1) | instid1(SALU_CYCLE_2)
	s_fmamk_f32 s1, s2, 0x4f800000, s1
	v_mov_b32_e32 v15, v2
	v_s_rcp_f32 s1, s1
	s_delay_alu instid0(VALU_DEP_2) | instskip(NEXT) | instid1(VALU_DEP_3)
	v_xor_b32_e32 v8, v6, v4
	v_xor_b32_e32 v14, v7, v4
	;; [unrolled: 1-line block ×3, first 2 shown]
	s_delay_alu instid0(TRANS32_DEP_1) | instskip(NEXT) | instid1(SALU_CYCLE_3)
	s_mul_f32 s1, s1, 0x5f7ffffc
	s_mul_f32 s2, s1, 0x2f800000
	s_delay_alu instid0(SALU_CYCLE_3) | instskip(NEXT) | instid1(SALU_CYCLE_3)
	s_trunc_f32 s2, s2
	s_fmamk_f32 s1, s2, 0xcf800000, s1
	s_cvt_u32_f32 s53, s2
	s_delay_alu instid0(SALU_CYCLE_2) | instskip(NEXT) | instid1(SALU_CYCLE_3)
	s_cvt_u32_f32 s52, s1
	s_mul_u64 s[56:57], s[54:55], s[52:53]
	s_delay_alu instid0(SALU_CYCLE_1)
	s_mul_hi_u32 s59, s52, s57
	s_mul_i32 s58, s52, s57
	s_mul_hi_u32 s2, s52, s56
	s_mul_i32 s37, s53, s56
	s_add_nc_u64 s[58:59], s[2:3], s[58:59]
	s_mul_hi_u32 s1, s53, s56
	s_mul_hi_u32 s43, s53, s57
	s_add_co_u32 s2, s58, s37
	s_add_co_ci_u32 s2, s59, s1
	s_mul_i32 s56, s53, s57
	s_add_co_ci_u32 s57, s43, 0
	s_delay_alu instid0(SALU_CYCLE_1) | instskip(NEXT) | instid1(SALU_CYCLE_1)
	s_add_nc_u64 s[56:57], s[2:3], s[56:57]
	s_add_co_u32 s52, s52, s56
	s_cselect_b32 s1, -1, 0
	s_delay_alu instid0(SALU_CYCLE_1) | instskip(SKIP_1) | instid1(SALU_CYCLE_1)
	s_cmp_lg_u32 s1, 0
	s_add_co_ci_u32 s53, s53, s57
	s_mul_u64 s[54:55], s[54:55], s[52:53]
	s_delay_alu instid0(SALU_CYCLE_1)
	s_mul_hi_u32 s57, s52, s55
	s_mul_i32 s56, s52, s55
	s_mul_hi_u32 s2, s52, s54
	s_mul_i32 s37, s53, s54
	s_add_nc_u64 s[56:57], s[2:3], s[56:57]
	s_mul_hi_u32 s1, s53, s54
	s_mul_hi_u32 s43, s53, s55
	s_add_co_u32 s2, s56, s37
	s_add_co_ci_u32 s2, s57, s1
	s_mul_i32 s54, s53, s55
	s_add_co_ci_u32 s55, s43, 0
	s_delay_alu instid0(SALU_CYCLE_1) | instskip(NEXT) | instid1(SALU_CYCLE_1)
	s_add_nc_u64 s[54:55], s[2:3], s[54:55]
	s_add_co_u32 s52, s52, s54
	s_cselect_b32 s1, -1, 0
	v_mul_hi_u32 v18, v8, s52
	s_cmp_lg_u32 s1, 0
	s_add_co_ci_u32 s2, s53, s55
	s_and_b64 s[54:55], s[52:53], s[34:35]
	v_mul_u64_e32 v[12:13], s[2:3], v[8:9]
	v_mul_u64_e32 v[6:7], s[54:55], v[14:15]
	;; [unrolled: 1-line block ×3, first 2 shown]
	s_delay_alu instid0(VALU_DEP_3) | instskip(NEXT) | instid1(VALU_DEP_1)
	v_add_nc_u64_e32 v[12:13], v[18:19], v[12:13]
	v_add_co_u32 v3, vcc_lo, v12, v6
	s_delay_alu instid0(VALU_DEP_2) | instskip(NEXT) | instid1(VALU_DEP_4)
	v_add_co_ci_u32_e32 v18, vcc_lo, v13, v7, vcc_lo
	v_add_co_ci_u32_e32 v17, vcc_lo, 0, v17, vcc_lo
	s_delay_alu instid0(VALU_DEP_1) | instskip(NEXT) | instid1(VALU_DEP_1)
	v_add_nc_u64_e32 v[6:7], v[18:19], v[16:17]
	v_mul_u64_e32 v[12:13], s[40:41], v[6:7]
	s_delay_alu instid0(VALU_DEP_1) | instskip(NEXT) | instid1(VALU_DEP_2)
	v_sub_nc_u32_e32 v3, v14, v13
	v_sub_co_u32 v5, vcc_lo, v8, v12
	s_delay_alu instid0(VALU_DEP_1) | instskip(NEXT) | instid1(VALU_DEP_3)
	v_sub_co_ci_u32_e64 v11, null, v14, v13, vcc_lo
	v_subrev_co_ci_u32_e64 v3, null, s41, v3, vcc_lo
	s_delay_alu instid0(VALU_DEP_3) | instskip(SKIP_1) | instid1(VALU_DEP_3)
	v_sub_co_u32 v8, s1, v5, s40
	v_add_nc_u64_e32 v[12:13], 1, v[6:7]
	v_subrev_co_ci_u32_e64 v3, null, 0, v3, s1
	s_delay_alu instid0(VALU_DEP_3) | instskip(SKIP_1) | instid1(VALU_DEP_3)
	v_cmp_le_u32_e32 vcc_lo, s40, v8
	v_cndmask_b32_e64 v8, 0, -1, vcc_lo
	v_cmp_le_u32_e32 vcc_lo, s41, v3
	v_cndmask_b32_e64 v9, 0, -1, vcc_lo
	;; [unrolled: 2-line block ×4, first 2 shown]
	v_cmp_eq_u32_e32 vcc_lo, s41, v3
	v_cndmask_b32_e32 v3, v9, v8, vcc_lo
	v_cmp_eq_u32_e32 vcc_lo, s41, v11
	v_add_nc_u64_e32 v[8:9], 2, v[6:7]
	v_cndmask_b32_e32 v5, v14, v5, vcc_lo
	s_delay_alu instid0(VALU_DEP_4) | instskip(NEXT) | instid1(VALU_DEP_2)
	v_cmp_ne_u32_e32 vcc_lo, 0, v3
	v_cmp_ne_u32_e64 s1, 0, v5
	s_delay_alu instid0(VALU_DEP_4) | instskip(NEXT) | instid1(VALU_DEP_1)
	v_dual_cndmask_b32 v3, v13, v9, vcc_lo :: v_dual_cndmask_b32 v5, v12, v8, vcc_lo
	v_dual_cndmask_b32 v6, v6, v5, s1 :: v_dual_mov_b32 v5, v4
	s_delay_alu instid0(VALU_DEP_1) | instskip(NEXT) | instid1(VALU_DEP_1)
	v_dual_cndmask_b32 v3, v7, v3, s1 :: v_dual_bitop2_b32 v6, v6, v4 bitop3:0x14
	v_xor_b32_e32 v7, v3, v4
	s_delay_alu instid0(VALU_DEP_1)
	v_sub_nc_u64_e32 v[4:5], v[6:7], v[4:5]
.LBB14_6:                               ;   in Loop: Header=BB14_4 Depth=1
	s_and_not1_saveexec_b32 s1, s42
	s_cbranch_execz .LBB14_8
; %bb.7:                                ;   in Loop: Header=BB14_4 Depth=1
	s_sub_co_i32 s2, 0, s8
	s_delay_alu instid0(SALU_CYCLE_1) | instskip(NEXT) | instid1(VALU_DEP_1)
	v_mul_lo_u32 v3, s2, v10
	v_mul_hi_u32 v3, v10, v3
	s_delay_alu instid0(VALU_DEP_1) | instskip(NEXT) | instid1(VALU_DEP_1)
	v_add_nc_u32_e32 v3, v10, v3
	v_mul_hi_u32 v3, v0, v3
	s_delay_alu instid0(VALU_DEP_1) | instskip(NEXT) | instid1(VALU_DEP_1)
	v_mul_lo_u32 v4, v3, s8
	v_sub_nc_u32_e32 v4, v0, v4
	s_delay_alu instid0(VALU_DEP_1) | instskip(SKIP_1) | instid1(VALU_DEP_2)
	v_subrev_nc_u32_e32 v6, s8, v4
	v_cmp_le_u32_e32 vcc_lo, s8, v4
	v_dual_cndmask_b32 v4, v4, v6 :: v_dual_add_nc_u32 v5, 1, v3
	s_delay_alu instid0(VALU_DEP_1) | instskip(NEXT) | instid1(VALU_DEP_2)
	v_cndmask_b32_e32 v3, v3, v5, vcc_lo
	v_cmp_le_u32_e32 vcc_lo, s8, v4
	s_delay_alu instid0(VALU_DEP_2) | instskip(NEXT) | instid1(VALU_DEP_1)
	v_add_nc_u32_e32 v5, 1, v3
	v_dual_cndmask_b32 v4, v3, v5 :: v_dual_mov_b32 v5, v2
.LBB14_8:                               ;   in Loop: Header=BB14_4 Depth=1
	s_or_b32 exec_lo, exec_lo, s1
	s_delay_alu instid0(VALU_DEP_1) | instskip(SKIP_1) | instid1(VALU_DEP_1)
	v_or_b32_e32 v3, s25, v5
                                        ; implicit-def: $vgpr6_vgpr7
	s_mov_b32 s1, exec_lo
	v_cmpx_ne_u64_e32 0, v[2:3]
	s_xor_b32 s37, exec_lo, s1
	s_cbranch_execz .LBB14_10
; %bb.9:                                ;   in Loop: Header=BB14_4 Depth=1
	s_ashr_i32 s40, s25, 31
	v_dual_mov_b32 v13, v2 :: v_dual_ashrrev_i32 v6, 31, v5
	s_mov_b32 s41, s40
	s_delay_alu instid0(SALU_CYCLE_1) | instskip(NEXT) | instid1(VALU_DEP_1)
	s_add_nc_u64 s[42:43], s[24:25], s[40:41]
	v_mov_b32_e32 v7, v6
	s_xor_b64 s[42:43], s[42:43], s[40:41]
	s_delay_alu instid0(SALU_CYCLE_1)
	s_cvt_f32_u32 s1, s42
	s_cvt_f32_u32 s2, s43
	s_sub_nc_u64 s[54:55], 0, s[42:43]
	v_add_nc_u64_e32 v[8:9], v[4:5], v[6:7]
	v_mov_b32_e32 v17, v2
	s_fmamk_f32 s1, s2, 0x4f800000, s1
	s_delay_alu instid0(SALU_CYCLE_3) | instskip(NEXT) | instid1(VALU_DEP_2)
	v_s_rcp_f32 s1, s1
	v_xor_b32_e32 v12, v8, v6
	s_delay_alu instid0(VALU_DEP_3) | instskip(SKIP_1) | instid1(TRANS32_DEP_1)
	v_dual_mov_b32 v21, v2 :: v_dual_bitop2_b32 v16, v9, v6 bitop3:0x14
	v_xor_b32_e32 v6, s40, v6
	s_mul_f32 s1, s1, 0x5f7ffffc
	s_delay_alu instid0(SALU_CYCLE_3) | instskip(NEXT) | instid1(SALU_CYCLE_3)
	s_mul_f32 s2, s1, 0x2f800000
	s_trunc_f32 s2, s2
	s_delay_alu instid0(SALU_CYCLE_3) | instskip(SKIP_1) | instid1(SALU_CYCLE_2)
	s_fmamk_f32 s1, s2, 0xcf800000, s1
	s_cvt_u32_f32 s53, s2
	s_cvt_u32_f32 s52, s1
	s_delay_alu instid0(SALU_CYCLE_3) | instskip(NEXT) | instid1(SALU_CYCLE_1)
	s_mul_u64 s[56:57], s[54:55], s[52:53]
	s_mul_hi_u32 s59, s52, s57
	s_mul_i32 s58, s52, s57
	s_mul_hi_u32 s2, s52, s56
	s_mul_i32 s41, s53, s56
	s_add_nc_u64 s[58:59], s[2:3], s[58:59]
	s_mul_hi_u32 s1, s53, s56
	s_mul_hi_u32 s60, s53, s57
	s_add_co_u32 s2, s58, s41
	s_add_co_ci_u32 s2, s59, s1
	s_mul_i32 s56, s53, s57
	s_add_co_ci_u32 s57, s60, 0
	s_delay_alu instid0(SALU_CYCLE_1) | instskip(NEXT) | instid1(SALU_CYCLE_1)
	s_add_nc_u64 s[56:57], s[2:3], s[56:57]
	s_add_co_u32 s52, s52, s56
	s_cselect_b32 s1, -1, 0
	s_delay_alu instid0(SALU_CYCLE_1) | instskip(SKIP_1) | instid1(SALU_CYCLE_1)
	s_cmp_lg_u32 s1, 0
	s_add_co_ci_u32 s53, s53, s57
	s_mul_u64 s[54:55], s[54:55], s[52:53]
	s_delay_alu instid0(SALU_CYCLE_1)
	s_mul_hi_u32 s57, s52, s55
	s_mul_i32 s56, s52, s55
	s_mul_hi_u32 s2, s52, s54
	s_mul_i32 s41, s53, s54
	s_add_nc_u64 s[56:57], s[2:3], s[56:57]
	s_mul_hi_u32 s1, s53, s54
	s_mul_hi_u32 s58, s53, s55
	s_add_co_u32 s2, s56, s41
	s_add_co_ci_u32 s2, s57, s1
	s_mul_i32 s54, s53, s55
	s_add_co_ci_u32 s55, s58, 0
	s_delay_alu instid0(SALU_CYCLE_1) | instskip(NEXT) | instid1(SALU_CYCLE_1)
	s_add_nc_u64 s[54:55], s[2:3], s[54:55]
	s_add_co_u32 s52, s52, s54
	s_cselect_b32 s1, -1, 0
	v_mul_hi_u32 v20, v12, s52
	s_cmp_lg_u32 s1, 0
	s_add_co_ci_u32 s2, s53, s55
	s_and_b64 s[54:55], s[52:53], s[34:35]
	v_mul_u64_e32 v[14:15], s[2:3], v[12:13]
	v_mul_u64_e32 v[8:9], s[54:55], v[16:17]
	;; [unrolled: 1-line block ×3, first 2 shown]
	s_delay_alu instid0(VALU_DEP_3) | instskip(NEXT) | instid1(VALU_DEP_1)
	v_add_nc_u64_e32 v[14:15], v[20:21], v[14:15]
	v_add_co_u32 v3, vcc_lo, v14, v8
	s_delay_alu instid0(VALU_DEP_2) | instskip(NEXT) | instid1(VALU_DEP_4)
	v_add_co_ci_u32_e32 v20, vcc_lo, v15, v9, vcc_lo
	v_add_co_ci_u32_e32 v19, vcc_lo, 0, v19, vcc_lo
	s_delay_alu instid0(VALU_DEP_1) | instskip(NEXT) | instid1(VALU_DEP_1)
	v_add_nc_u64_e32 v[8:9], v[20:21], v[18:19]
	v_mul_u64_e32 v[14:15], s[42:43], v[8:9]
	s_delay_alu instid0(VALU_DEP_1) | instskip(NEXT) | instid1(VALU_DEP_2)
	v_sub_nc_u32_e32 v3, v16, v15
	v_sub_co_u32 v5, vcc_lo, v12, v14
	s_delay_alu instid0(VALU_DEP_1) | instskip(NEXT) | instid1(VALU_DEP_3)
	v_sub_co_ci_u32_e64 v11, null, v16, v15, vcc_lo
	v_subrev_co_ci_u32_e64 v3, null, s43, v3, vcc_lo
	s_delay_alu instid0(VALU_DEP_3) | instskip(SKIP_1) | instid1(VALU_DEP_3)
	v_sub_co_u32 v7, s1, v5, s42
	v_add_nc_u64_e32 v[14:15], 1, v[8:9]
	v_subrev_co_ci_u32_e64 v3, null, 0, v3, s1
	s_delay_alu instid0(VALU_DEP_3) | instskip(SKIP_1) | instid1(VALU_DEP_3)
	v_cmp_le_u32_e32 vcc_lo, s42, v7
	v_cndmask_b32_e64 v7, 0, -1, vcc_lo
	v_cmp_le_u32_e32 vcc_lo, s43, v3
	v_cndmask_b32_e64 v12, 0, -1, vcc_lo
	;; [unrolled: 2-line block ×4, first 2 shown]
	v_cmp_eq_u32_e32 vcc_lo, s43, v3
	v_cndmask_b32_e32 v3, v12, v7, vcc_lo
	v_cmp_eq_u32_e32 vcc_lo, s43, v11
	v_add_nc_u64_e32 v[12:13], 2, v[8:9]
	v_dual_mov_b32 v7, v6 :: v_dual_cndmask_b32 v5, v16, v5, vcc_lo
	s_delay_alu instid0(VALU_DEP_4) | instskip(NEXT) | instid1(VALU_DEP_2)
	v_cmp_ne_u32_e32 vcc_lo, 0, v3
	v_cmp_ne_u32_e64 s1, 0, v5
	s_delay_alu instid0(VALU_DEP_4) | instskip(NEXT) | instid1(VALU_DEP_1)
	v_dual_cndmask_b32 v3, v15, v13, vcc_lo :: v_dual_cndmask_b32 v5, v14, v12, vcc_lo
	v_dual_cndmask_b32 v3, v9, v3, s1 :: v_dual_cndmask_b32 v5, v8, v5, s1
	s_delay_alu instid0(VALU_DEP_1) | instskip(NEXT) | instid1(VALU_DEP_2)
	v_xor_b32_e32 v9, v3, v6
	v_xor_b32_e32 v8, v5, v6
	s_delay_alu instid0(VALU_DEP_1)
	v_sub_nc_u64_e32 v[6:7], v[8:9], v[6:7]
.LBB14_10:                              ;   in Loop: Header=BB14_4 Depth=1
	s_and_not1_saveexec_b32 s1, s37
	s_cbranch_execz .LBB14_12
; %bb.11:                               ;   in Loop: Header=BB14_4 Depth=1
	v_cvt_f32_u32_e32 v3, s24
	s_sub_co_i32 s2, 0, s24
	s_delay_alu instid0(VALU_DEP_1) | instskip(SKIP_1) | instid1(TRANS32_DEP_1)
	v_rcp_iflag_f32_e32 v3, v3
	v_nop
	v_mul_f32_e32 v3, 0x4f7ffffe, v3
	s_delay_alu instid0(VALU_DEP_1) | instskip(NEXT) | instid1(VALU_DEP_1)
	v_cvt_u32_f32_e32 v3, v3
	v_mul_lo_u32 v5, s2, v3
	s_delay_alu instid0(VALU_DEP_1) | instskip(NEXT) | instid1(VALU_DEP_1)
	v_mul_hi_u32 v5, v3, v5
	v_add_nc_u32_e32 v3, v3, v5
	s_delay_alu instid0(VALU_DEP_1) | instskip(NEXT) | instid1(VALU_DEP_1)
	v_mul_hi_u32 v3, v4, v3
	v_mul_lo_u32 v5, v3, s24
	s_delay_alu instid0(VALU_DEP_1) | instskip(NEXT) | instid1(VALU_DEP_1)
	v_dual_add_nc_u32 v6, 1, v3 :: v_dual_sub_nc_u32 v5, v4, v5
	v_subrev_nc_u32_e32 v7, s24, v5
	v_cmp_le_u32_e32 vcc_lo, s24, v5
	s_delay_alu instid0(VALU_DEP_2) | instskip(NEXT) | instid1(VALU_DEP_4)
	v_dual_cndmask_b32 v5, v5, v7, vcc_lo :: v_dual_mov_b32 v7, v2
	v_cndmask_b32_e32 v3, v3, v6, vcc_lo
	s_delay_alu instid0(VALU_DEP_2) | instskip(NEXT) | instid1(VALU_DEP_2)
	v_cmp_le_u32_e32 vcc_lo, s24, v5
	v_add_nc_u32_e32 v6, 1, v3
	s_delay_alu instid0(VALU_DEP_1)
	v_cndmask_b32_e32 v6, v3, v6, vcc_lo
.LBB14_12:                              ;   in Loop: Header=BB14_4 Depth=1
	s_or_b32 exec_lo, exec_lo, s1
	s_delay_alu instid0(VALU_DEP_1) | instskip(SKIP_1) | instid1(VALU_DEP_1)
	v_or_b32_e32 v3, s11, v7
                                        ; implicit-def: $vgpr8_vgpr9
	s_mov_b32 s1, exec_lo
	v_cmpx_ne_u64_e32 0, v[2:3]
	s_xor_b32 s37, exec_lo, s1
	s_cbranch_execz .LBB14_14
; %bb.13:                               ;   in Loop: Header=BB14_4 Depth=1
	s_ashr_i32 s40, s11, 31
	v_dual_mov_b32 v15, v2 :: v_dual_ashrrev_i32 v8, 31, v7
	s_mov_b32 s41, s40
	v_mov_b32_e32 v19, v2
	s_add_nc_u64 s[42:43], s[10:11], s[40:41]
	s_delay_alu instid0(VALU_DEP_2)
	v_mov_b32_e32 v9, v8
	s_xor_b64 s[42:43], s[42:43], s[40:41]
	v_mov_b32_e32 v23, v2
	s_cvt_f32_u32 s1, s42
	s_cvt_f32_u32 s2, s43
	s_sub_nc_u64 s[54:55], 0, s[42:43]
	v_add_nc_u64_e32 v[12:13], v[6:7], v[8:9]
	s_delay_alu instid0(SALU_CYCLE_1) | instskip(NEXT) | instid1(SALU_CYCLE_3)
	s_fmamk_f32 s1, s2, 0x4f800000, s1
	v_s_rcp_f32 s1, s1
	s_delay_alu instid0(VALU_DEP_1) | instskip(NEXT) | instid1(VALU_DEP_2)
	v_xor_b32_e32 v14, v12, v8
	v_xor_b32_e32 v18, v13, v8
	s_delay_alu instid0(TRANS32_DEP_1) | instskip(NEXT) | instid1(SALU_CYCLE_3)
	s_mul_f32 s1, s1, 0x5f7ffffc
	s_mul_f32 s2, s1, 0x2f800000
	s_delay_alu instid0(SALU_CYCLE_3) | instskip(NEXT) | instid1(SALU_CYCLE_3)
	s_trunc_f32 s2, s2
	s_fmamk_f32 s1, s2, 0xcf800000, s1
	s_cvt_u32_f32 s53, s2
	s_delay_alu instid0(SALU_CYCLE_2) | instskip(NEXT) | instid1(SALU_CYCLE_3)
	s_cvt_u32_f32 s52, s1
	s_mul_u64 s[56:57], s[54:55], s[52:53]
	s_delay_alu instid0(SALU_CYCLE_1)
	s_mul_hi_u32 s59, s52, s57
	s_mul_i32 s58, s52, s57
	s_mul_hi_u32 s2, s52, s56
	s_mul_i32 s41, s53, s56
	s_add_nc_u64 s[58:59], s[2:3], s[58:59]
	s_mul_hi_u32 s1, s53, s56
	s_mul_hi_u32 s60, s53, s57
	s_add_co_u32 s2, s58, s41
	s_add_co_ci_u32 s2, s59, s1
	s_mul_i32 s56, s53, s57
	s_add_co_ci_u32 s57, s60, 0
	s_delay_alu instid0(SALU_CYCLE_1) | instskip(NEXT) | instid1(SALU_CYCLE_1)
	s_add_nc_u64 s[56:57], s[2:3], s[56:57]
	s_add_co_u32 s52, s52, s56
	s_cselect_b32 s1, -1, 0
	s_delay_alu instid0(SALU_CYCLE_1) | instskip(SKIP_1) | instid1(SALU_CYCLE_1)
	s_cmp_lg_u32 s1, 0
	s_add_co_ci_u32 s53, s53, s57
	s_mul_u64 s[54:55], s[54:55], s[52:53]
	s_delay_alu instid0(SALU_CYCLE_1)
	s_mul_hi_u32 s57, s52, s55
	s_mul_i32 s56, s52, s55
	s_mul_hi_u32 s2, s52, s54
	s_mul_i32 s41, s53, s54
	s_add_nc_u64 s[56:57], s[2:3], s[56:57]
	s_mul_hi_u32 s1, s53, s54
	s_mul_hi_u32 s58, s53, s55
	s_add_co_u32 s2, s56, s41
	s_add_co_ci_u32 s2, s57, s1
	s_mul_i32 s54, s53, s55
	s_add_co_ci_u32 s55, s58, 0
	s_delay_alu instid0(SALU_CYCLE_1) | instskip(NEXT) | instid1(SALU_CYCLE_1)
	s_add_nc_u64 s[54:55], s[2:3], s[54:55]
	s_add_co_u32 s52, s52, s54
	s_cselect_b32 s1, -1, 0
	v_mul_hi_u32 v22, v14, s52
	s_cmp_lg_u32 s1, 0
	s_add_co_ci_u32 s2, s53, s55
	s_and_b64 s[54:55], s[52:53], s[34:35]
	v_mul_u64_e32 v[16:17], s[2:3], v[14:15]
	v_mul_u64_e32 v[12:13], s[54:55], v[18:19]
	;; [unrolled: 1-line block ×3, first 2 shown]
	s_delay_alu instid0(VALU_DEP_3) | instskip(NEXT) | instid1(VALU_DEP_1)
	v_add_nc_u64_e32 v[16:17], v[22:23], v[16:17]
	v_add_co_u32 v3, vcc_lo, v16, v12
	s_delay_alu instid0(VALU_DEP_2) | instskip(NEXT) | instid1(VALU_DEP_4)
	v_add_co_ci_u32_e32 v22, vcc_lo, v17, v13, vcc_lo
	v_add_co_ci_u32_e32 v21, vcc_lo, 0, v21, vcc_lo
	s_delay_alu instid0(VALU_DEP_1) | instskip(NEXT) | instid1(VALU_DEP_1)
	v_add_nc_u64_e32 v[12:13], v[22:23], v[20:21]
	v_mul_u64_e32 v[16:17], s[42:43], v[12:13]
	s_delay_alu instid0(VALU_DEP_1) | instskip(SKIP_1) | instid1(VALU_DEP_3)
	v_sub_co_u32 v5, vcc_lo, v14, v16
	v_add_nc_u64_e32 v[14:15], 2, v[12:13]
	v_sub_nc_u32_e32 v3, v18, v17
	v_sub_co_ci_u32_e64 v9, null, v18, v17, vcc_lo
	s_delay_alu instid0(VALU_DEP_4) | instskip(NEXT) | instid1(VALU_DEP_3)
	v_sub_co_u32 v7, s1, v5, s42
	v_subrev_co_ci_u32_e64 v3, null, s43, v3, vcc_lo
	v_add_nc_u64_e32 v[16:17], 1, v[12:13]
	s_delay_alu instid0(VALU_DEP_3) | instskip(NEXT) | instid1(VALU_DEP_3)
	v_cmp_le_u32_e32 vcc_lo, s42, v7
	v_subrev_co_ci_u32_e64 v3, null, 0, v3, s1
	v_cndmask_b32_e64 v7, 0, -1, vcc_lo
	s_delay_alu instid0(VALU_DEP_2)
	v_cmp_le_u32_e32 vcc_lo, s43, v3
	v_cndmask_b32_e64 v11, 0, -1, vcc_lo
	v_cmp_le_u32_e32 vcc_lo, s42, v5
	v_cndmask_b32_e64 v5, 0, -1, vcc_lo
	;; [unrolled: 2-line block ×3, first 2 shown]
	v_cmp_eq_u32_e32 vcc_lo, s43, v3
	v_cndmask_b32_e32 v3, v11, v7, vcc_lo
	v_cmp_eq_u32_e32 vcc_lo, s43, v9
	s_delay_alu instid0(VALU_DEP_4) | instskip(NEXT) | instid1(VALU_DEP_3)
	v_cndmask_b32_e32 v5, v18, v5, vcc_lo
	v_cmp_ne_u32_e32 vcc_lo, 0, v3
	v_cndmask_b32_e32 v3, v17, v15, vcc_lo
	s_delay_alu instid0(VALU_DEP_3) | instskip(SKIP_1) | instid1(VALU_DEP_1)
	v_cmp_ne_u32_e64 s1, 0, v5
	v_dual_cndmask_b32 v5, v16, v14, vcc_lo :: v_dual_bitop2_b32 v8, s40, v8 bitop3:0x14
	v_dual_cndmask_b32 v3, v13, v3, s1 :: v_dual_cndmask_b32 v5, v12, v5, s1
	s_delay_alu instid0(VALU_DEP_1) | instskip(NEXT) | instid1(VALU_DEP_2)
	v_dual_mov_b32 v9, v8 :: v_dual_bitop2_b32 v13, v3, v8 bitop3:0x14
	v_xor_b32_e32 v12, v5, v8
	s_delay_alu instid0(VALU_DEP_1)
	v_sub_nc_u64_e32 v[8:9], v[12:13], v[8:9]
.LBB14_14:                              ;   in Loop: Header=BB14_4 Depth=1
	s_and_not1_saveexec_b32 s1, s37
	s_cbranch_execz .LBB14_16
; %bb.15:                               ;   in Loop: Header=BB14_4 Depth=1
	v_cvt_f32_u32_e32 v3, s10
	s_sub_co_i32 s2, 0, s10
	s_delay_alu instid0(VALU_DEP_1) | instskip(SKIP_1) | instid1(TRANS32_DEP_1)
	v_rcp_iflag_f32_e32 v3, v3
	v_nop
	v_mul_f32_e32 v3, 0x4f7ffffe, v3
	s_delay_alu instid0(VALU_DEP_1) | instskip(NEXT) | instid1(VALU_DEP_1)
	v_cvt_u32_f32_e32 v3, v3
	v_mul_lo_u32 v5, s2, v3
	s_delay_alu instid0(VALU_DEP_1) | instskip(NEXT) | instid1(VALU_DEP_1)
	v_mul_hi_u32 v5, v3, v5
	v_add_nc_u32_e32 v3, v3, v5
	s_delay_alu instid0(VALU_DEP_1) | instskip(NEXT) | instid1(VALU_DEP_1)
	v_mul_hi_u32 v3, v6, v3
	v_mul_lo_u32 v5, v3, s10
	s_delay_alu instid0(VALU_DEP_1) | instskip(NEXT) | instid1(VALU_DEP_1)
	v_sub_nc_u32_e32 v5, v6, v5
	v_subrev_nc_u32_e32 v8, s10, v5
	v_cmp_le_u32_e32 vcc_lo, s10, v5
	s_delay_alu instid0(VALU_DEP_2) | instskip(NEXT) | instid1(VALU_DEP_1)
	v_dual_add_nc_u32 v7, 1, v3 :: v_dual_cndmask_b32 v5, v5, v8, vcc_lo
	v_cndmask_b32_e32 v3, v3, v7, vcc_lo
	s_delay_alu instid0(VALU_DEP_2) | instskip(NEXT) | instid1(VALU_DEP_2)
	v_cmp_le_u32_e32 vcc_lo, s10, v5
	v_add_nc_u32_e32 v7, 1, v3
	s_delay_alu instid0(VALU_DEP_1)
	v_cndmask_b32_e32 v8, v3, v7, vcc_lo
.LBB14_16:                              ;   in Loop: Header=BB14_4 Depth=1
	s_or_b32 exec_lo, exec_lo, s1
	s_delay_alu instid0(VALU_DEP_1) | instskip(SKIP_2) | instid1(VALU_DEP_2)
	v_mul_lo_u32 v3, v8, s10
	v_mov_b32_e32 v11, 0
	s_mov_b32 s1, exec_lo
	v_dual_mov_b32 v7, 0 :: v_dual_sub_nc_u32 v3, v6, v3
	s_delay_alu instid0(VALU_DEP_1)
	v_cmpx_le_i32_e64 s14, v3
	s_cbranch_execz .LBB14_18
; %bb.17:                               ;   in Loop: Header=BB14_4 Depth=1
	v_subrev_nc_u32_e32 v12, s14, v3
	v_mov_b32_e32 v13, v2
	s_delay_alu instid0(VALU_DEP_1) | instskip(NEXT) | instid1(VALU_DEP_1)
	v_mul_u64_e32 v[14:15], s[28:29], v[12:13]
	v_mul_lo_u32 v5, v15, s33
	s_delay_alu instid0(VALU_DEP_1) | instskip(NEXT) | instid1(VALU_DEP_1)
	v_dual_add_nc_u32 v9, 1, v15 :: v_dual_sub_nc_u32 v5, v12, v5
	v_subrev_nc_u32_e32 v11, s33, v5
	v_cmp_le_u32_e32 vcc_lo, s33, v5
	s_delay_alu instid0(VALU_DEP_2) | instskip(NEXT) | instid1(VALU_DEP_1)
	v_dual_cndmask_b32 v9, v15, v9, vcc_lo :: v_dual_cndmask_b32 v5, v5, v11, vcc_lo
	v_add_nc_u32_e32 v11, 1, v9
	s_delay_alu instid0(VALU_DEP_2) | instskip(NEXT) | instid1(VALU_DEP_2)
	v_cmp_le_u32_e32 vcc_lo, s33, v5
	v_cndmask_b32_e32 v5, v9, v11, vcc_lo
	s_delay_alu instid0(VALU_DEP_1) | instskip(NEXT) | instid1(VALU_DEP_1)
	v_xor_b32_e32 v5, s47, v5
	v_subrev_nc_u32_e32 v5, s47, v5
	s_delay_alu instid0(VALU_DEP_1)
	v_add_nc_u32_e32 v11, 1, v5
.LBB14_18:                              ;   in Loop: Header=BB14_4 Depth=1
	s_or_b32 exec_lo, exec_lo, s1
	v_mul_lo_u32 v5, v6, s24
	s_mov_b32 s1, exec_lo
	s_delay_alu instid0(VALU_DEP_1) | instskip(NEXT) | instid1(VALU_DEP_1)
	v_sub_nc_u32_e32 v5, v4, v5
	v_cmpx_le_i32_e64 s15, v5
	s_cbranch_execz .LBB14_20
; %bb.19:                               ;   in Loop: Header=BB14_4 Depth=1
	v_subrev_nc_u32_e32 v6, s15, v5
	v_mov_b32_e32 v7, v2
	s_delay_alu instid0(VALU_DEP_1) | instskip(NEXT) | instid1(VALU_DEP_1)
	v_mul_u64_e32 v[12:13], s[30:31], v[6:7]
	v_mul_lo_u32 v7, v13, s44
	s_delay_alu instid0(VALU_DEP_1) | instskip(NEXT) | instid1(VALU_DEP_1)
	v_dual_sub_nc_u32 v6, v6, v7 :: v_dual_add_nc_u32 v7, 1, v13
	v_subrev_nc_u32_e32 v9, s44, v6
	v_cmp_le_u32_e32 vcc_lo, s44, v6
	s_delay_alu instid0(VALU_DEP_2) | instskip(NEXT) | instid1(VALU_DEP_1)
	v_dual_cndmask_b32 v7, v13, v7 :: v_dual_cndmask_b32 v6, v6, v9
	v_add_nc_u32_e32 v9, 1, v7
	s_delay_alu instid0(VALU_DEP_2) | instskip(NEXT) | instid1(VALU_DEP_2)
	v_cmp_le_u32_e32 vcc_lo, s44, v6
	v_cndmask_b32_e32 v6, v7, v9, vcc_lo
	s_delay_alu instid0(VALU_DEP_1) | instskip(NEXT) | instid1(VALU_DEP_1)
	v_xor_b32_e32 v6, s48, v6
	v_subrev_nc_u32_e32 v6, s48, v6
	s_delay_alu instid0(VALU_DEP_1)
	v_add_nc_u32_e32 v7, 1, v6
.LBB14_20:                              ;   in Loop: Header=BB14_4 Depth=1
	s_or_b32 exec_lo, exec_lo, s1
	v_dual_mov_b32 v13, v2 :: v_dual_sub_nc_u32 v6, 0, v3
	s_mov_b32 s37, exec_lo
	s_delay_alu instid0(VALU_DEP_1) | instskip(NEXT) | instid1(VALU_DEP_1)
	v_max_i32_e32 v12, v3, v6
	v_mul_u64_e32 v[14:15], s[28:29], v[12:13]
	s_delay_alu instid0(VALU_DEP_1) | instskip(NEXT) | instid1(VALU_DEP_1)
	v_mul_lo_u32 v6, v15, s33
	v_dual_add_nc_u32 v9, 1, v15 :: v_dual_sub_nc_u32 v6, v12, v6
	s_delay_alu instid0(VALU_DEP_1) | instskip(NEXT) | instid1(VALU_DEP_2)
	v_cmp_le_u32_e32 vcc_lo, s33, v6
	v_cndmask_b32_e32 v9, v15, v9, vcc_lo
	v_subrev_nc_u32_e32 v12, s33, v6
	s_delay_alu instid0(VALU_DEP_1) | instskip(NEXT) | instid1(VALU_DEP_1)
	v_dual_cndmask_b32 v6, v6, v12 :: v_dual_ashrrev_i32 v3, 31, v3
	v_dual_add_nc_u32 v12, 1, v9 :: v_dual_bitop2_b32 v3, s47, v3 bitop3:0x14
	s_delay_alu instid0(VALU_DEP_2) | instskip(NEXT) | instid1(VALU_DEP_2)
	v_cmp_le_u32_e32 vcc_lo, s33, v6
	v_cndmask_b32_e32 v6, v9, v12, vcc_lo
	s_delay_alu instid0(VALU_DEP_1) | instskip(NEXT) | instid1(VALU_DEP_1)
	v_xor_b32_e32 v6, v6, v3
	v_sub_nc_u32_e32 v3, v6, v3
	s_delay_alu instid0(VALU_DEP_1) | instskip(SKIP_1) | instid1(VALU_DEP_2)
	v_add_min_i32_e64 v6, v3, 1, s12
	v_mov_b32_e32 v3, 0
	v_cmpx_lt_i32_e64 v11, v6
	s_cbranch_execz .LBB14_3
; %bb.21:                               ;   in Loop: Header=BB14_4 Depth=1
	v_dual_sub_nc_u32 v3, 0, v5 :: v_dual_mov_b32 v13, v2
	v_mul_lo_u32 v4, v4, s8
	s_mov_b32 s40, 0
	s_delay_alu instid0(VALU_DEP_2) | instskip(SKIP_1) | instid1(VALU_DEP_2)
	v_dual_ashrrev_i32 v9, 31, v8 :: v_dual_max_i32 v12, v5, v3
	v_ashrrev_i32_e32 v5, 31, v5
	v_mul_u64_e32 v[16:17], s[38:39], v[8:9]
	s_delay_alu instid0(VALU_DEP_3) | instskip(SKIP_1) | instid1(VALU_DEP_1)
	v_mul_u64_e32 v[14:15], s[30:31], v[12:13]
	v_mul_lo_u32 v14, s17, v7
	v_dual_add_nc_u32 v13, s50, v14 :: v_dual_bitop2_b32 v5, s48, v5 bitop3:0x14
	s_delay_alu instid0(VALU_DEP_4) | instskip(NEXT) | instid1(VALU_DEP_4)
	v_lshl_add_u64 v[16:17], v[16:17], 2, s[6:7]
	v_mul_lo_u32 v3, v15, s44
	v_add_nc_u32_e32 v8, 1, v15
	s_delay_alu instid0(VALU_DEP_2) | instskip(SKIP_1) | instid1(VALU_DEP_2)
	v_dual_sub_nc_u32 v3, v12, v3 :: v_dual_add_nc_u32 v12, s49, v14
	v_sub_nc_u32_e32 v14, s19, v14
	v_cmp_le_u32_e32 vcc_lo, s44, v3
	s_delay_alu instid0(VALU_DEP_4) | instskip(SKIP_1) | instid1(VALU_DEP_1)
	v_cndmask_b32_e32 v8, v15, v8, vcc_lo
	v_subrev_nc_u32_e32 v9, s44, v3
	v_dual_cndmask_b32 v3, v3, v9, vcc_lo :: v_dual_add_nc_u32 v9, 1, v8
	s_delay_alu instid0(VALU_DEP_1) | instskip(NEXT) | instid1(VALU_DEP_2)
	v_cmp_le_u32_e32 vcc_lo, s44, v3
	v_cndmask_b32_e32 v3, v8, v9, vcc_lo
	s_delay_alu instid0(VALU_DEP_1) | instskip(NEXT) | instid1(VALU_DEP_1)
	v_dual_sub_nc_u32 v3, v0, v4 :: v_dual_bitop2_b32 v8, v3, v5 bitop3:0x14
	v_sub_nc_u32_e32 v9, v8, v5
	s_delay_alu instid0(VALU_DEP_2) | instskip(SKIP_2) | instid1(VALU_DEP_4)
	v_ashrrev_i64 v[4:5], 30, v[2:3]
	v_mul_lo_u32 v8, s13, v11
	v_mov_b32_e32 v3, 0
	v_add_min_i32_e64 v9, v9, 1, s13
	s_delay_alu instid0(VALU_DEP_4) | instskip(NEXT) | instid1(VALU_DEP_2)
	v_add_nc_u64_e32 v[4:5], v[16:17], v[4:5]
	v_cmp_lt_i32_e64 s1, v7, v9
	s_branch .LBB14_24
.LBB14_22:                              ;   in Loop: Header=BB14_24 Depth=2
	s_or_b32 exec_lo, exec_lo, s42
.LBB14_23:                              ;   in Loop: Header=BB14_24 Depth=2
	s_delay_alu instid0(SALU_CYCLE_1) | instskip(SKIP_1) | instid1(VALU_DEP_1)
	s_or_b32 exec_lo, exec_lo, s41
	v_dual_add_nc_u32 v11, 1, v11 :: v_dual_add_nc_u32 v8, s13, v8
	v_cmp_ge_i32_e32 vcc_lo, v11, v6
	s_or_b32 s40, vcc_lo, s40
	s_delay_alu instid0(SALU_CYCLE_1)
	s_and_not1_b32 exec_lo, exec_lo, s40
	s_cbranch_execz .LBB14_2
.LBB14_24:                              ;   Parent Loop BB14_4 Depth=1
                                        ; =>  This Loop Header: Depth=2
                                        ;       Child Loop BB14_27 Depth 3
	s_delay_alu instid0(VALU_DEP_1)
	s_and_saveexec_b32 s41, s1
	s_cbranch_execz .LBB14_23
; %bb.25:                               ;   in Loop: Header=BB14_24 Depth=2
	v_mul_lo_u32 v15, v11, s16
	s_mov_b32 s42, 0
	v_mov_b32_e32 v16, v13
	s_delay_alu instid0(VALU_DEP_2) | instskip(NEXT) | instid1(VALU_DEP_1)
	v_subrev_nc_u32_e32 v18, s18, v15
	v_dual_mov_b32 v15, v14 :: v_dual_max_i32 v20, 0, v18
	v_add_min_i32_e64 v19, v18, s14, s45
	s_delay_alu instid0(VALU_DEP_1) | instskip(SKIP_1) | instid1(VALU_DEP_1)
	v_dual_mov_b32 v17, v12 :: v_dual_sub_nc_u32 v18, v19, v18
	v_min_i32_e32 v21, s10, v19
	v_cmp_gt_i32_e64 s2, v21, v20
	v_dual_mov_b32 v20, v7 :: v_dual_sub_nc_u32 v19, v21, v20
	s_branch .LBB14_27
.LBB14_26:                              ;   in Loop: Header=BB14_27 Depth=3
	s_or_b32 exec_lo, exec_lo, s43
	v_dual_add_nc_u32 v20, 1, v20 :: v_dual_add_nc_u32 v17, s17, v17
	v_add_nc_u32_e32 v16, s17, v16
	v_subrev_nc_u32_e32 v15, s17, v15
	s_delay_alu instid0(VALU_DEP_3) | instskip(SKIP_1) | instid1(SALU_CYCLE_1)
	v_cmp_ge_i32_e32 vcc_lo, v20, v9
	s_or_b32 s42, vcc_lo, s42
	s_and_not1_b32 exec_lo, exec_lo, s42
	s_cbranch_execz .LBB14_22
.LBB14_27:                              ;   Parent Loop BB14_4 Depth=1
                                        ;     Parent Loop BB14_24 Depth=2
                                        ; =>    This Inner Loop Header: Depth=3
	v_dual_add_nc_u32 v22, s15, v17 :: v_dual_max_i32 v21, 0, v17
	s_delay_alu instid0(VALU_DEP_1) | instskip(NEXT) | instid1(VALU_DEP_1)
	v_min3_i32 v22, v22, s46, s24
	v_cmp_gt_i32_e32 vcc_lo, v22, v21
	s_and_b32 s52, s2, vcc_lo
	s_delay_alu instid0(SALU_CYCLE_1)
	s_and_saveexec_b32 s43, s52
	s_cbranch_execz .LBB14_26
; %bb.28:                               ;   in Loop: Header=BB14_27 Depth=3
	v_dual_add_nc_u32 v24, v8, v20 :: v_dual_sub_nc_u32 v21, v22, v21
	s_delay_alu instid0(VALU_DEP_1) | instskip(NEXT) | instid1(VALU_DEP_2)
	v_ashrrev_i32_e32 v25, 31, v24
	v_mul_lo_u32 v21, v21, v19
	s_delay_alu instid0(VALU_DEP_2) | instskip(NEXT) | instid1(VALU_DEP_1)
	v_mul_u64_e32 v[24:25], s[8:9], v[24:25]
	v_lshl_add_u64 v[24:25], v[24:25], 2, v[4:5]
	global_load_b32 v23, v[24:25], off
	s_wait_xcnt 0x0
	v_min_i32_e32 v24, s46, v16
	s_delay_alu instid0(VALU_DEP_1) | instskip(NEXT) | instid1(VALU_DEP_1)
	v_add_nc_u32_e32 v22, v24, v15
	v_mul_lo_u32 v22, v22, v18
	s_delay_alu instid0(VALU_DEP_1) | instskip(NEXT) | instid1(VALU_DEP_1)
	v_cndmask_b32_e64 v21, v21, v22, s0
	v_cndmask_b32_e64 v21, v21, s22, s23
	s_delay_alu instid0(VALU_DEP_1) | instskip(SKIP_1) | instid1(VALU_DEP_1)
	v_cvt_f32_i32_e32 v21, v21
	s_wait_loadcnt 0x0
	v_div_scale_f32 v22, null, v21, v21, v23
	s_delay_alu instid0(VALU_DEP_1) | instskip(SKIP_1) | instid1(TRANS32_DEP_1)
	v_rcp_f32_e32 v24, v22
	v_nop
	v_fma_f32 v25, -v22, v24, 1.0
	s_delay_alu instid0(VALU_DEP_1) | instskip(SKIP_1) | instid1(VALU_DEP_1)
	v_fmac_f32_e32 v24, v25, v24
	v_div_scale_f32 v25, vcc_lo, v23, v21, v23
	v_mul_f32_e32 v26, v25, v24
	s_delay_alu instid0(VALU_DEP_1) | instskip(NEXT) | instid1(VALU_DEP_1)
	v_fma_f32 v27, -v22, v26, v25
	v_fmac_f32_e32 v26, v27, v24
	s_delay_alu instid0(VALU_DEP_1) | instskip(NEXT) | instid1(VALU_DEP_1)
	v_fma_f32 v22, -v22, v26, v25
	v_div_fmas_f32 v22, v22, v24, v26
	s_delay_alu instid0(VALU_DEP_1) | instskip(NEXT) | instid1(VALU_DEP_1)
	v_div_fixup_f32 v21, v22, v21, v23
	v_add_f32_e32 v3, v3, v21
	s_branch .LBB14_26
.LBB14_29:
	s_endpgm
	.section	.rodata,"a",@progbits
	.p2align	6, 0x0
	.amdhsa_kernel _ZN2at6native12_GLOBAL__N_139avg_pool2d_backward_out_cuda_frame_nhwcIfflEEvT1_PKT_llliiiiiiiiPS4_ibb
		.amdhsa_group_segment_fixed_size 0
		.amdhsa_private_segment_fixed_size 0
		.amdhsa_kernarg_size 344
		.amdhsa_user_sgpr_count 2
		.amdhsa_user_sgpr_dispatch_ptr 0
		.amdhsa_user_sgpr_queue_ptr 0
		.amdhsa_user_sgpr_kernarg_segment_ptr 1
		.amdhsa_user_sgpr_dispatch_id 0
		.amdhsa_user_sgpr_kernarg_preload_length 0
		.amdhsa_user_sgpr_kernarg_preload_offset 0
		.amdhsa_user_sgpr_private_segment_size 0
		.amdhsa_wavefront_size32 1
		.amdhsa_uses_dynamic_stack 0
		.amdhsa_enable_private_segment 0
		.amdhsa_system_sgpr_workgroup_id_x 1
		.amdhsa_system_sgpr_workgroup_id_y 0
		.amdhsa_system_sgpr_workgroup_id_z 0
		.amdhsa_system_sgpr_workgroup_info 0
		.amdhsa_system_vgpr_workitem_id 0
		.amdhsa_next_free_vgpr 28
		.amdhsa_next_free_sgpr 61
		.amdhsa_named_barrier_count 0
		.amdhsa_reserve_vcc 1
		.amdhsa_float_round_mode_32 0
		.amdhsa_float_round_mode_16_64 0
		.amdhsa_float_denorm_mode_32 3
		.amdhsa_float_denorm_mode_16_64 3
		.amdhsa_fp16_overflow 0
		.amdhsa_memory_ordered 1
		.amdhsa_forward_progress 1
		.amdhsa_inst_pref_size 30
		.amdhsa_round_robin_scheduling 0
		.amdhsa_exception_fp_ieee_invalid_op 0
		.amdhsa_exception_fp_denorm_src 0
		.amdhsa_exception_fp_ieee_div_zero 0
		.amdhsa_exception_fp_ieee_overflow 0
		.amdhsa_exception_fp_ieee_underflow 0
		.amdhsa_exception_fp_ieee_inexact 0
		.amdhsa_exception_int_div_zero 0
	.end_amdhsa_kernel
	.section	.text._ZN2at6native12_GLOBAL__N_139avg_pool2d_backward_out_cuda_frame_nhwcIfflEEvT1_PKT_llliiiiiiiiPS4_ibb,"axG",@progbits,_ZN2at6native12_GLOBAL__N_139avg_pool2d_backward_out_cuda_frame_nhwcIfflEEvT1_PKT_llliiiiiiiiPS4_ibb,comdat
.Lfunc_end14:
	.size	_ZN2at6native12_GLOBAL__N_139avg_pool2d_backward_out_cuda_frame_nhwcIfflEEvT1_PKT_llliiiiiiiiPS4_ibb, .Lfunc_end14-_ZN2at6native12_GLOBAL__N_139avg_pool2d_backward_out_cuda_frame_nhwcIfflEEvT1_PKT_llliiiiiiiiPS4_ibb
                                        ; -- End function
	.set _ZN2at6native12_GLOBAL__N_139avg_pool2d_backward_out_cuda_frame_nhwcIfflEEvT1_PKT_llliiiiiiiiPS4_ibb.num_vgpr, 28
	.set _ZN2at6native12_GLOBAL__N_139avg_pool2d_backward_out_cuda_frame_nhwcIfflEEvT1_PKT_llliiiiiiiiPS4_ibb.num_agpr, 0
	.set _ZN2at6native12_GLOBAL__N_139avg_pool2d_backward_out_cuda_frame_nhwcIfflEEvT1_PKT_llliiiiiiiiPS4_ibb.numbered_sgpr, 61
	.set _ZN2at6native12_GLOBAL__N_139avg_pool2d_backward_out_cuda_frame_nhwcIfflEEvT1_PKT_llliiiiiiiiPS4_ibb.num_named_barrier, 0
	.set _ZN2at6native12_GLOBAL__N_139avg_pool2d_backward_out_cuda_frame_nhwcIfflEEvT1_PKT_llliiiiiiiiPS4_ibb.private_seg_size, 0
	.set _ZN2at6native12_GLOBAL__N_139avg_pool2d_backward_out_cuda_frame_nhwcIfflEEvT1_PKT_llliiiiiiiiPS4_ibb.uses_vcc, 1
	.set _ZN2at6native12_GLOBAL__N_139avg_pool2d_backward_out_cuda_frame_nhwcIfflEEvT1_PKT_llliiiiiiiiPS4_ibb.uses_flat_scratch, 0
	.set _ZN2at6native12_GLOBAL__N_139avg_pool2d_backward_out_cuda_frame_nhwcIfflEEvT1_PKT_llliiiiiiiiPS4_ibb.has_dyn_sized_stack, 0
	.set _ZN2at6native12_GLOBAL__N_139avg_pool2d_backward_out_cuda_frame_nhwcIfflEEvT1_PKT_llliiiiiiiiPS4_ibb.has_recursion, 0
	.set _ZN2at6native12_GLOBAL__N_139avg_pool2d_backward_out_cuda_frame_nhwcIfflEEvT1_PKT_llliiiiiiiiPS4_ibb.has_indirect_call, 0
	.section	.AMDGPU.csdata,"",@progbits
; Kernel info:
; codeLenInByte = 3716
; TotalNumSgprs: 63
; NumVgprs: 28
; ScratchSize: 0
; MemoryBound: 0
; FloatMode: 240
; IeeeMode: 1
; LDSByteSize: 0 bytes/workgroup (compile time only)
; SGPRBlocks: 0
; VGPRBlocks: 1
; NumSGPRsForWavesPerEU: 63
; NumVGPRsForWavesPerEU: 28
; NamedBarCnt: 0
; Occupancy: 16
; WaveLimiterHint : 0
; COMPUTE_PGM_RSRC2:SCRATCH_EN: 0
; COMPUTE_PGM_RSRC2:USER_SGPR: 2
; COMPUTE_PGM_RSRC2:TRAP_HANDLER: 0
; COMPUTE_PGM_RSRC2:TGID_X_EN: 1
; COMPUTE_PGM_RSRC2:TGID_Y_EN: 0
; COMPUTE_PGM_RSRC2:TGID_Z_EN: 0
; COMPUTE_PGM_RSRC2:TIDIG_COMP_CNT: 0
	.section	.text._ZN2at6native12_GLOBAL__N_134avg_pool2d_backward_out_cuda_frameIfflEEvT1_PKT_llllliiiiiiPS4_ibb,"axG",@progbits,_ZN2at6native12_GLOBAL__N_134avg_pool2d_backward_out_cuda_frameIfflEEvT1_PKT_llllliiiiiiPS4_ibb,comdat
	.globl	_ZN2at6native12_GLOBAL__N_134avg_pool2d_backward_out_cuda_frameIfflEEvT1_PKT_llllliiiiiiPS4_ibb ; -- Begin function _ZN2at6native12_GLOBAL__N_134avg_pool2d_backward_out_cuda_frameIfflEEvT1_PKT_llllliiiiiiPS4_ibb
	.p2align	8
	.type	_ZN2at6native12_GLOBAL__N_134avg_pool2d_backward_out_cuda_frameIfflEEvT1_PKT_llllliiiiiiPS4_ibb,@function
_ZN2at6native12_GLOBAL__N_134avg_pool2d_backward_out_cuda_frameIfflEEvT1_PKT_llllliiiiiiPS4_ibb: ; @_ZN2at6native12_GLOBAL__N_134avg_pool2d_backward_out_cuda_frameIfflEEvT1_PKT_llllliiiiiiPS4_ibb
; %bb.0:
	s_load_b32 s2, s[0:1], 0x6c
	s_bfe_u32 s4, ttmp6, 0x4000c
	v_mov_b32_e32 v2, 0
	s_add_co_i32 s13, s4, 1
	s_load_b256 s[4:11], s[0:1], 0x0
	s_and_b32 s3, ttmp6, 15
	s_mul_i32 s13, ttmp9, s13
	s_getreg_b32 s12, hwreg(HW_REG_IB_STS2, 6, 4)
	v_mov_b32_e32 v1, v2
	s_add_co_i32 s3, s3, s13
	s_wait_kmcnt 0x0
	s_and_b32 s2, s2, 0xffff
	s_cmp_eq_u32 s12, 0
	s_mov_b32 s12, exec_lo
	s_cselect_b32 s3, ttmp9, s3
	s_delay_alu instid0(SALU_CYCLE_1) | instskip(SKIP_1) | instid1(VALU_DEP_1)
	v_mad_nc_u64_u32 v[0:1], s2, s3, v[0:1]
	s_mov_b32 s3, 0
	v_cmpx_gt_i64_e64 s[4:5], v[0:1]
	s_cbranch_execz .LBB15_29
; %bb.1:
	s_clause 0x1
	s_load_b64 s[28:29], s[0:1], 0x58
	s_load_b256 s[12:19], s[0:1], 0x20
	s_wait_kmcnt 0x0
	s_add_nc_u64 s[18:19], s[0:1], 0x60
	s_load_b32 s30, s[0:1], 0x5c
	s_load_b32 s33, s[18:19], 0x0
	s_load_b256 s[20:27], s[0:1], 0x38
	s_wait_xcnt 0x0
	s_mov_b32 s19, s3
	s_mov_b32 s31, s3
	;; [unrolled: 1-line block ×3, first 2 shown]
	s_mov_b64 s[36:37], 0xffffffff
	s_mov_b32 s54, 0
	s_bitcmp1_b32 s29, 0
	v_cvt_f32_u32_e32 v3, s12
	s_cselect_b32 s0, -1, 0
	s_wait_kmcnt 0x0
	s_bitcmp1_b32 s30, 8
	s_mul_i32 s18, s33, s2
	s_cselect_b32 s29, -1, 0
	s_abs_i32 s33, s22
	s_abs_i32 s48, s23
	s_cvt_f32_u32 s1, s33
	s_cvt_f32_u32 s2, s48
	v_rcp_iflag_f32_e32 v3, v3
	s_sub_co_i32 s30, 0, s33
	v_rcp_iflag_f32_e32 v4, s1
	v_rcp_iflag_f32_e32 v5, s2
	s_sub_co_i32 s34, 0, s48
	s_add_co_i32 s49, s24, s10
	s_add_co_i32 s50, s25, s12
	v_mul_f32_e32 v3, 0x4f7ffffe, v3
	s_ashr_i32 s51, s22, 31
	v_readfirstlane_b32 s1, v4
	v_readfirstlane_b32 s2, v5
	s_ashr_i32 s52, s23, 31
	v_cvt_u32_f32_e32 v14, v3
	s_lshl_b64 s[38:39], s[14:15], 2
	s_mul_f32 s1, s1, 0x4f7ffffe
	s_mul_f32 s2, s2, 0x4f7ffffe
	s_lshl_b64 s[40:41], s[16:17], 2
	s_sub_co_i32 s15, 0, s25
	s_cvt_u32_f32 s1, s1
	s_cvt_u32_f32 s2, s2
	s_sub_co_i32 s53, s21, s25
	s_ashr_i32 s42, s13, 31
	s_mul_i32 s30, s30, s1
	s_mul_i32 s34, s34, s2
	s_mul_hi_u32 s30, s1, s30
	s_mul_hi_u32 s34, s2, s34
	s_add_co_i32 s30, s1, s30
	s_add_co_i32 s34, s2, s34
	s_branch .LBB15_4
.LBB15_2:                               ;   in Loop: Header=BB15_4 Depth=1
	s_or_b32 exec_lo, exec_lo, s44
.LBB15_3:                               ;   in Loop: Header=BB15_4 Depth=1
	s_delay_alu instid0(SALU_CYCLE_1)
	s_or_b32 exec_lo, exec_lo, s43
	v_lshl_add_u64 v[4:5], v[0:1], 2, s[26:27]
	v_add_nc_u64_e32 v[0:1], s[18:19], v[0:1]
	global_store_b32 v[4:5], v9, off
	v_cmp_le_i64_e32 vcc_lo, s[4:5], v[0:1]
	s_or_b32 s54, vcc_lo, s54
	s_wait_xcnt 0x0
	s_and_not1_b32 exec_lo, exec_lo, s54
	s_cbranch_execz .LBB15_29
.LBB15_4:                               ; =>This Loop Header: Depth=1
                                        ;     Child Loop BB15_24 Depth 2
                                        ;       Child Loop BB15_27 Depth 3
	v_or_b32_e32 v3, s13, v1
                                        ; implicit-def: $vgpr4_vgpr5
	s_mov_b32 s1, exec_lo
	s_delay_alu instid0(VALU_DEP_1)
	v_cmpx_ne_u64_e32 0, v[2:3]
	s_xor_b32 s46, exec_lo, s1
	s_cbranch_execz .LBB15_6
; %bb.5:                                ;   in Loop: Header=BB15_4 Depth=1
	s_mov_b32 s43, s42
	v_dual_mov_b32 v9, v2 :: v_dual_ashrrev_i32 v4, 31, v1
	s_add_nc_u64 s[44:45], s[12:13], s[42:43]
	s_delay_alu instid0(SALU_CYCLE_1) | instskip(NEXT) | instid1(VALU_DEP_1)
	s_xor_b64 s[44:45], s[44:45], s[42:43]
	v_mov_b32_e32 v5, v4
	s_cvt_f32_u32 s1, s44
	s_cvt_f32_u32 s2, s45
	s_sub_nc_u64 s[58:59], 0, s[44:45]
	s_delay_alu instid0(VALU_DEP_1) | instskip(NEXT) | instid1(SALU_CYCLE_1)
	v_add_nc_u64_e32 v[6:7], v[0:1], v[4:5]
	s_fmamk_f32 s1, s2, 0x4f800000, s1
	v_mov_b32_e32 v13, v2
	s_delay_alu instid0(SALU_CYCLE_2) | instskip(NEXT) | instid1(VALU_DEP_2)
	v_s_rcp_f32 s1, s1
	v_xor_b32_e32 v8, v6, v4
	s_delay_alu instid0(VALU_DEP_3) | instskip(SKIP_1) | instid1(TRANS32_DEP_1)
	v_dual_mov_b32 v19, v2 :: v_dual_bitop2_b32 v12, v7, v4 bitop3:0x14
	v_xor_b32_e32 v4, s42, v4
	s_mul_f32 s1, s1, 0x5f7ffffc
	s_delay_alu instid0(SALU_CYCLE_3) | instskip(NEXT) | instid1(SALU_CYCLE_3)
	s_mul_f32 s2, s1, 0x2f800000
	s_trunc_f32 s2, s2
	s_delay_alu instid0(SALU_CYCLE_3) | instskip(SKIP_1) | instid1(SALU_CYCLE_2)
	s_fmamk_f32 s1, s2, 0xcf800000, s1
	s_cvt_u32_f32 s57, s2
	s_cvt_u32_f32 s56, s1
	s_delay_alu instid0(SALU_CYCLE_3) | instskip(NEXT) | instid1(SALU_CYCLE_1)
	s_mul_u64 s[60:61], s[58:59], s[56:57]
	s_mul_hi_u32 s63, s56, s61
	s_mul_i32 s62, s56, s61
	s_mul_hi_u32 s2, s56, s60
	s_mul_i32 s43, s57, s60
	s_add_nc_u64 s[62:63], s[2:3], s[62:63]
	s_mul_hi_u32 s1, s57, s60
	s_mul_hi_u32 s47, s57, s61
	s_add_co_u32 s2, s62, s43
	s_add_co_ci_u32 s2, s63, s1
	s_mul_i32 s60, s57, s61
	s_add_co_ci_u32 s61, s47, 0
	s_delay_alu instid0(SALU_CYCLE_1) | instskip(NEXT) | instid1(SALU_CYCLE_1)
	s_add_nc_u64 s[60:61], s[2:3], s[60:61]
	s_add_co_u32 s56, s56, s60
	s_cselect_b32 s1, -1, 0
	s_delay_alu instid0(SALU_CYCLE_1) | instskip(SKIP_1) | instid1(SALU_CYCLE_1)
	s_cmp_lg_u32 s1, 0
	s_add_co_ci_u32 s57, s57, s61
	s_mul_u64 s[58:59], s[58:59], s[56:57]
	s_delay_alu instid0(SALU_CYCLE_1)
	s_mul_hi_u32 s61, s56, s59
	s_mul_i32 s60, s56, s59
	s_mul_hi_u32 s2, s56, s58
	s_mul_i32 s43, s57, s58
	s_add_nc_u64 s[60:61], s[2:3], s[60:61]
	s_mul_hi_u32 s1, s57, s58
	s_mul_hi_u32 s47, s57, s59
	s_add_co_u32 s2, s60, s43
	s_add_co_ci_u32 s2, s61, s1
	s_mul_i32 s58, s57, s59
	s_add_co_ci_u32 s59, s47, 0
	s_delay_alu instid0(SALU_CYCLE_1) | instskip(NEXT) | instid1(SALU_CYCLE_1)
	s_add_nc_u64 s[58:59], s[2:3], s[58:59]
	s_add_co_u32 s56, s56, s58
	s_cselect_b32 s1, -1, 0
	v_mul_hi_u32 v18, v8, s56
	s_cmp_lg_u32 s1, 0
	s_add_co_ci_u32 s2, s57, s59
	s_and_b64 s[58:59], s[56:57], s[36:37]
	v_mul_u64_e32 v[10:11], s[2:3], v[8:9]
	v_mul_u64_e32 v[6:7], s[58:59], v[12:13]
	;; [unrolled: 1-line block ×3, first 2 shown]
	s_delay_alu instid0(VALU_DEP_3) | instskip(NEXT) | instid1(VALU_DEP_1)
	v_add_nc_u64_e32 v[10:11], v[18:19], v[10:11]
	v_add_co_u32 v3, vcc_lo, v10, v6
	s_delay_alu instid0(VALU_DEP_2) | instskip(NEXT) | instid1(VALU_DEP_4)
	v_add_co_ci_u32_e32 v18, vcc_lo, v11, v7, vcc_lo
	v_add_co_ci_u32_e32 v17, vcc_lo, 0, v17, vcc_lo
	s_delay_alu instid0(VALU_DEP_1) | instskip(NEXT) | instid1(VALU_DEP_1)
	v_add_nc_u64_e32 v[6:7], v[18:19], v[16:17]
	v_mul_u64_e32 v[10:11], s[44:45], v[6:7]
	s_delay_alu instid0(VALU_DEP_1) | instskip(NEXT) | instid1(VALU_DEP_2)
	v_sub_nc_u32_e32 v3, v12, v11
	v_sub_co_u32 v5, vcc_lo, v8, v10
	s_delay_alu instid0(VALU_DEP_1) | instskip(NEXT) | instid1(VALU_DEP_3)
	v_sub_co_ci_u32_e64 v12, null, v12, v11, vcc_lo
	v_subrev_co_ci_u32_e64 v3, null, s45, v3, vcc_lo
	s_delay_alu instid0(VALU_DEP_3) | instskip(SKIP_1) | instid1(VALU_DEP_3)
	v_sub_co_u32 v8, s1, v5, s44
	v_add_nc_u64_e32 v[10:11], 1, v[6:7]
	v_subrev_co_ci_u32_e64 v3, null, 0, v3, s1
	s_delay_alu instid0(VALU_DEP_3) | instskip(SKIP_1) | instid1(VALU_DEP_3)
	v_cmp_le_u32_e32 vcc_lo, s44, v8
	v_cndmask_b32_e64 v8, 0, -1, vcc_lo
	v_cmp_le_u32_e32 vcc_lo, s45, v3
	v_cndmask_b32_e64 v9, 0, -1, vcc_lo
	;; [unrolled: 2-line block ×4, first 2 shown]
	v_cmp_eq_u32_e32 vcc_lo, s45, v3
	v_cndmask_b32_e32 v3, v9, v8, vcc_lo
	v_cmp_eq_u32_e32 vcc_lo, s45, v12
	v_add_nc_u64_e32 v[8:9], 2, v[6:7]
	v_cndmask_b32_e32 v5, v13, v5, vcc_lo
	s_delay_alu instid0(VALU_DEP_4) | instskip(NEXT) | instid1(VALU_DEP_2)
	v_cmp_ne_u32_e32 vcc_lo, 0, v3
	v_cmp_ne_u32_e64 s1, 0, v5
	s_delay_alu instid0(VALU_DEP_4) | instskip(NEXT) | instid1(VALU_DEP_1)
	v_dual_cndmask_b32 v3, v11, v9, vcc_lo :: v_dual_cndmask_b32 v5, v10, v8, vcc_lo
	v_dual_cndmask_b32 v6, v6, v5, s1 :: v_dual_mov_b32 v5, v4
	s_delay_alu instid0(VALU_DEP_1) | instskip(NEXT) | instid1(VALU_DEP_1)
	v_dual_cndmask_b32 v3, v7, v3, s1 :: v_dual_bitop2_b32 v6, v6, v4 bitop3:0x14
	v_xor_b32_e32 v7, v3, v4
	s_delay_alu instid0(VALU_DEP_1)
	v_sub_nc_u64_e32 v[4:5], v[6:7], v[4:5]
.LBB15_6:                               ;   in Loop: Header=BB15_4 Depth=1
	s_and_not1_saveexec_b32 s1, s46
	s_cbranch_execz .LBB15_8
; %bb.7:                                ;   in Loop: Header=BB15_4 Depth=1
	s_sub_co_i32 s2, 0, s12
	s_delay_alu instid0(SALU_CYCLE_1) | instskip(NEXT) | instid1(VALU_DEP_1)
	v_mul_lo_u32 v3, s2, v14
	v_mul_hi_u32 v3, v14, v3
	s_delay_alu instid0(VALU_DEP_1) | instskip(NEXT) | instid1(VALU_DEP_1)
	v_add_nc_u32_e32 v3, v14, v3
	v_mul_hi_u32 v3, v0, v3
	s_delay_alu instid0(VALU_DEP_1) | instskip(NEXT) | instid1(VALU_DEP_1)
	v_mul_lo_u32 v4, v3, s12
	v_sub_nc_u32_e32 v4, v0, v4
	s_delay_alu instid0(VALU_DEP_1) | instskip(SKIP_1) | instid1(VALU_DEP_2)
	v_subrev_nc_u32_e32 v6, s12, v4
	v_cmp_le_u32_e32 vcc_lo, s12, v4
	v_dual_cndmask_b32 v4, v4, v6 :: v_dual_add_nc_u32 v5, 1, v3
	s_delay_alu instid0(VALU_DEP_1) | instskip(NEXT) | instid1(VALU_DEP_2)
	v_cndmask_b32_e32 v3, v3, v5, vcc_lo
	v_cmp_le_u32_e32 vcc_lo, s12, v4
	s_delay_alu instid0(VALU_DEP_2) | instskip(NEXT) | instid1(VALU_DEP_1)
	v_add_nc_u32_e32 v5, 1, v3
	v_dual_cndmask_b32 v4, v3, v5 :: v_dual_mov_b32 v5, v2
.LBB15_8:                               ;   in Loop: Header=BB15_4 Depth=1
	s_or_b32 exec_lo, exec_lo, s1
	s_delay_alu instid0(VALU_DEP_1) | instskip(SKIP_1) | instid1(VALU_DEP_1)
	v_or_b32_e32 v3, s11, v5
                                        ; implicit-def: $vgpr6_vgpr7
	s_mov_b32 s1, exec_lo
	v_cmpx_ne_u64_e32 0, v[2:3]
	s_xor_b32 s43, exec_lo, s1
	s_cbranch_execz .LBB15_10
; %bb.9:                                ;   in Loop: Header=BB15_4 Depth=1
	s_ashr_i32 s44, s11, 31
	v_dual_mov_b32 v11, v2 :: v_dual_ashrrev_i32 v6, 31, v5
	s_mov_b32 s45, s44
	s_delay_alu instid0(SALU_CYCLE_1) | instskip(NEXT) | instid1(VALU_DEP_1)
	s_add_nc_u64 s[46:47], s[10:11], s[44:45]
	v_mov_b32_e32 v7, v6
	s_xor_b64 s[46:47], s[46:47], s[44:45]
	s_delay_alu instid0(SALU_CYCLE_1)
	s_cvt_f32_u32 s1, s46
	s_cvt_f32_u32 s2, s47
	s_sub_nc_u64 s[58:59], 0, s[46:47]
	v_add_nc_u64_e32 v[8:9], v[4:5], v[6:7]
	v_mov_b32_e32 v17, v2
	s_fmamk_f32 s1, s2, 0x4f800000, s1
	s_delay_alu instid0(SALU_CYCLE_3) | instskip(NEXT) | instid1(VALU_DEP_2)
	v_s_rcp_f32 s1, s1
	v_xor_b32_e32 v10, v8, v6
	s_delay_alu instid0(VALU_DEP_3) | instskip(NEXT) | instid1(TRANS32_DEP_1)
	v_dual_mov_b32 v21, v2 :: v_dual_bitop2_b32 v16, v9, v6 bitop3:0x14
	s_mul_f32 s1, s1, 0x5f7ffffc
	s_delay_alu instid0(SALU_CYCLE_3) | instskip(NEXT) | instid1(SALU_CYCLE_3)
	s_mul_f32 s2, s1, 0x2f800000
	s_trunc_f32 s2, s2
	s_delay_alu instid0(SALU_CYCLE_3) | instskip(SKIP_1) | instid1(SALU_CYCLE_2)
	s_fmamk_f32 s1, s2, 0xcf800000, s1
	s_cvt_u32_f32 s57, s2
	s_cvt_u32_f32 s56, s1
	s_delay_alu instid0(SALU_CYCLE_3) | instskip(NEXT) | instid1(SALU_CYCLE_1)
	s_mul_u64 s[60:61], s[58:59], s[56:57]
	s_mul_hi_u32 s63, s56, s61
	s_mul_i32 s62, s56, s61
	s_mul_hi_u32 s2, s56, s60
	s_mul_i32 s45, s57, s60
	s_add_nc_u64 s[62:63], s[2:3], s[62:63]
	s_mul_hi_u32 s1, s57, s60
	s_mul_hi_u32 s55, s57, s61
	s_add_co_u32 s2, s62, s45
	s_add_co_ci_u32 s2, s63, s1
	s_mul_i32 s60, s57, s61
	s_add_co_ci_u32 s61, s55, 0
	s_delay_alu instid0(SALU_CYCLE_1) | instskip(NEXT) | instid1(SALU_CYCLE_1)
	s_add_nc_u64 s[60:61], s[2:3], s[60:61]
	s_add_co_u32 s56, s56, s60
	s_cselect_b32 s1, -1, 0
	s_delay_alu instid0(SALU_CYCLE_1) | instskip(SKIP_1) | instid1(SALU_CYCLE_1)
	s_cmp_lg_u32 s1, 0
	s_add_co_ci_u32 s57, s57, s61
	s_mul_u64 s[58:59], s[58:59], s[56:57]
	s_delay_alu instid0(SALU_CYCLE_1)
	s_mul_hi_u32 s61, s56, s59
	s_mul_i32 s60, s56, s59
	s_mul_hi_u32 s2, s56, s58
	s_mul_i32 s45, s57, s58
	s_add_nc_u64 s[60:61], s[2:3], s[60:61]
	s_mul_hi_u32 s1, s57, s58
	s_mul_hi_u32 s55, s57, s59
	s_add_co_u32 s2, s60, s45
	s_add_co_ci_u32 s2, s61, s1
	s_mul_i32 s58, s57, s59
	s_add_co_ci_u32 s59, s55, 0
	s_delay_alu instid0(SALU_CYCLE_1) | instskip(NEXT) | instid1(SALU_CYCLE_1)
	s_add_nc_u64 s[58:59], s[2:3], s[58:59]
	s_add_co_u32 s56, s56, s58
	s_cselect_b32 s1, -1, 0
	v_mul_hi_u32 v20, v10, s56
	s_cmp_lg_u32 s1, 0
	s_add_co_ci_u32 s2, s57, s59
	s_and_b64 s[58:59], s[56:57], s[36:37]
	v_mul_u64_e32 v[12:13], s[2:3], v[10:11]
	v_mul_u64_e32 v[8:9], s[58:59], v[16:17]
	;; [unrolled: 1-line block ×3, first 2 shown]
	s_delay_alu instid0(VALU_DEP_3) | instskip(NEXT) | instid1(VALU_DEP_1)
	v_add_nc_u64_e32 v[12:13], v[20:21], v[12:13]
	v_add_co_u32 v3, vcc_lo, v12, v8
	s_delay_alu instid0(VALU_DEP_2) | instskip(NEXT) | instid1(VALU_DEP_4)
	v_add_co_ci_u32_e32 v20, vcc_lo, v13, v9, vcc_lo
	v_add_co_ci_u32_e32 v19, vcc_lo, 0, v19, vcc_lo
	s_delay_alu instid0(VALU_DEP_1) | instskip(NEXT) | instid1(VALU_DEP_1)
	v_add_nc_u64_e32 v[8:9], v[20:21], v[18:19]
	v_mul_u64_e32 v[12:13], s[46:47], v[8:9]
	s_delay_alu instid0(VALU_DEP_1) | instskip(NEXT) | instid1(VALU_DEP_2)
	v_sub_nc_u32_e32 v3, v16, v13
	v_sub_co_u32 v5, vcc_lo, v10, v12
	s_delay_alu instid0(VALU_DEP_1) | instskip(NEXT) | instid1(VALU_DEP_3)
	v_sub_co_ci_u32_e64 v15, null, v16, v13, vcc_lo
	v_subrev_co_ci_u32_e64 v3, null, s47, v3, vcc_lo
	s_delay_alu instid0(VALU_DEP_3) | instskip(SKIP_1) | instid1(VALU_DEP_3)
	v_sub_co_u32 v7, s1, v5, s46
	v_add_nc_u64_e32 v[12:13], 1, v[8:9]
	v_subrev_co_ci_u32_e64 v3, null, 0, v3, s1
	s_delay_alu instid0(VALU_DEP_3) | instskip(SKIP_1) | instid1(VALU_DEP_3)
	v_cmp_le_u32_e32 vcc_lo, s46, v7
	v_cndmask_b32_e64 v7, 0, -1, vcc_lo
	v_cmp_le_u32_e32 vcc_lo, s47, v3
	v_cndmask_b32_e64 v10, 0, -1, vcc_lo
	;; [unrolled: 2-line block ×4, first 2 shown]
	v_cmp_eq_u32_e32 vcc_lo, s47, v3
	v_cndmask_b32_e32 v3, v10, v7, vcc_lo
	v_cmp_eq_u32_e32 vcc_lo, s47, v15
	v_add_nc_u64_e32 v[10:11], 2, v[8:9]
	v_cndmask_b32_e32 v5, v16, v5, vcc_lo
	s_delay_alu instid0(VALU_DEP_4) | instskip(NEXT) | instid1(VALU_DEP_2)
	v_cmp_ne_u32_e32 vcc_lo, 0, v3
	v_cmp_ne_u32_e64 s1, 0, v5
	s_delay_alu instid0(VALU_DEP_4) | instskip(NEXT) | instid1(VALU_DEP_1)
	v_dual_cndmask_b32 v3, v13, v11, vcc_lo :: v_dual_cndmask_b32 v5, v12, v10, vcc_lo
	v_dual_cndmask_b32 v3, v9, v3, s1 :: v_dual_bitop2_b32 v6, s44, v6 bitop3:0x14
	s_delay_alu instid0(VALU_DEP_1) | instskip(NEXT) | instid1(VALU_DEP_2)
	v_dual_cndmask_b32 v5, v8, v5, s1 :: v_dual_mov_b32 v7, v6
	v_xor_b32_e32 v9, v3, v6
	s_delay_alu instid0(VALU_DEP_2) | instskip(NEXT) | instid1(VALU_DEP_1)
	v_xor_b32_e32 v8, v5, v6
	v_sub_nc_u64_e32 v[6:7], v[8:9], v[6:7]
.LBB15_10:                              ;   in Loop: Header=BB15_4 Depth=1
	s_and_not1_saveexec_b32 s1, s43
	s_cbranch_execz .LBB15_12
; %bb.11:                               ;   in Loop: Header=BB15_4 Depth=1
	v_cvt_f32_u32_e32 v3, s10
	s_sub_co_i32 s2, 0, s10
	s_delay_alu instid0(VALU_DEP_1) | instskip(SKIP_1) | instid1(TRANS32_DEP_1)
	v_rcp_iflag_f32_e32 v3, v3
	v_nop
	v_mul_f32_e32 v3, 0x4f7ffffe, v3
	s_delay_alu instid0(VALU_DEP_1) | instskip(NEXT) | instid1(VALU_DEP_1)
	v_cvt_u32_f32_e32 v3, v3
	v_mul_lo_u32 v5, s2, v3
	s_delay_alu instid0(VALU_DEP_1) | instskip(NEXT) | instid1(VALU_DEP_1)
	v_mul_hi_u32 v5, v3, v5
	v_add_nc_u32_e32 v3, v3, v5
	s_delay_alu instid0(VALU_DEP_1) | instskip(NEXT) | instid1(VALU_DEP_1)
	v_mul_hi_u32 v3, v4, v3
	v_mul_lo_u32 v5, v3, s10
	s_delay_alu instid0(VALU_DEP_1) | instskip(NEXT) | instid1(VALU_DEP_1)
	v_dual_add_nc_u32 v6, 1, v3 :: v_dual_sub_nc_u32 v5, v4, v5
	v_subrev_nc_u32_e32 v7, s10, v5
	v_cmp_le_u32_e32 vcc_lo, s10, v5
	s_delay_alu instid0(VALU_DEP_2) | instskip(NEXT) | instid1(VALU_DEP_4)
	v_dual_cndmask_b32 v5, v5, v7, vcc_lo :: v_dual_mov_b32 v7, v2
	v_cndmask_b32_e32 v3, v3, v6, vcc_lo
	s_delay_alu instid0(VALU_DEP_2) | instskip(NEXT) | instid1(VALU_DEP_2)
	v_cmp_le_u32_e32 vcc_lo, s10, v5
	v_add_nc_u32_e32 v6, 1, v3
	s_delay_alu instid0(VALU_DEP_1)
	v_cndmask_b32_e32 v6, v3, v6, vcc_lo
.LBB15_12:                              ;   in Loop: Header=BB15_4 Depth=1
	s_or_b32 exec_lo, exec_lo, s1
	s_delay_alu instid0(VALU_DEP_1) | instskip(SKIP_1) | instid1(VALU_DEP_1)
	v_or_b32_e32 v3, s9, v7
                                        ; implicit-def: $vgpr12_vgpr13
	s_mov_b32 s1, exec_lo
	v_cmpx_ne_u64_e32 0, v[2:3]
	s_xor_b32 s43, exec_lo, s1
	s_cbranch_execz .LBB15_14
; %bb.13:                               ;   in Loop: Header=BB15_4 Depth=1
	s_ashr_i32 s44, s9, 31
	v_dual_mov_b32 v13, v2 :: v_dual_ashrrev_i32 v8, 31, v7
	s_mov_b32 s45, s44
	v_mov_b32_e32 v23, v2
	s_add_nc_u64 s[46:47], s[8:9], s[44:45]
	s_delay_alu instid0(VALU_DEP_2) | instskip(SKIP_1) | instid1(SALU_CYCLE_1)
	v_mov_b32_e32 v9, v8
	s_xor_b64 s[46:47], s[46:47], s[44:45]
	s_cvt_f32_u32 s1, s46
	s_cvt_f32_u32 s2, s47
	s_sub_nc_u64 s[58:59], 0, s[46:47]
	v_add_nc_u64_e32 v[10:11], v[6:7], v[8:9]
	v_mov_b32_e32 v19, v2
	s_fmamk_f32 s1, s2, 0x4f800000, s1
	s_delay_alu instid0(SALU_CYCLE_3) | instskip(NEXT) | instid1(VALU_DEP_2)
	v_s_rcp_f32 s1, s1
	v_xor_b32_e32 v12, v10, v8
	s_delay_alu instid0(VALU_DEP_3) | instskip(SKIP_1) | instid1(TRANS32_DEP_1)
	v_xor_b32_e32 v18, v11, v8
	v_xor_b32_e32 v8, s44, v8
	s_mul_f32 s1, s1, 0x5f7ffffc
	s_delay_alu instid0(SALU_CYCLE_3) | instskip(NEXT) | instid1(SALU_CYCLE_3)
	s_mul_f32 s2, s1, 0x2f800000
	s_trunc_f32 s2, s2
	s_delay_alu instid0(SALU_CYCLE_3) | instskip(SKIP_1) | instid1(SALU_CYCLE_2)
	s_fmamk_f32 s1, s2, 0xcf800000, s1
	s_cvt_u32_f32 s57, s2
	s_cvt_u32_f32 s56, s1
	s_delay_alu instid0(SALU_CYCLE_3) | instskip(NEXT) | instid1(SALU_CYCLE_1)
	s_mul_u64 s[60:61], s[58:59], s[56:57]
	s_mul_hi_u32 s63, s56, s61
	s_mul_i32 s62, s56, s61
	s_mul_hi_u32 s2, s56, s60
	s_mul_i32 s45, s57, s60
	s_add_nc_u64 s[62:63], s[2:3], s[62:63]
	s_mul_hi_u32 s1, s57, s60
	s_mul_hi_u32 s55, s57, s61
	s_add_co_u32 s2, s62, s45
	s_add_co_ci_u32 s2, s63, s1
	s_mul_i32 s60, s57, s61
	s_add_co_ci_u32 s61, s55, 0
	s_delay_alu instid0(SALU_CYCLE_1) | instskip(NEXT) | instid1(SALU_CYCLE_1)
	s_add_nc_u64 s[60:61], s[2:3], s[60:61]
	s_add_co_u32 s56, s56, s60
	s_cselect_b32 s1, -1, 0
	s_delay_alu instid0(SALU_CYCLE_1) | instskip(SKIP_1) | instid1(SALU_CYCLE_1)
	s_cmp_lg_u32 s1, 0
	s_add_co_ci_u32 s57, s57, s61
	s_mul_u64 s[58:59], s[58:59], s[56:57]
	s_delay_alu instid0(SALU_CYCLE_1)
	s_mul_hi_u32 s61, s56, s59
	s_mul_i32 s60, s56, s59
	s_mul_hi_u32 s2, s56, s58
	s_mul_i32 s45, s57, s58
	s_add_nc_u64 s[60:61], s[2:3], s[60:61]
	s_mul_hi_u32 s1, s57, s58
	s_mul_hi_u32 s55, s57, s59
	s_add_co_u32 s2, s60, s45
	s_add_co_ci_u32 s2, s61, s1
	s_mul_i32 s58, s57, s59
	s_add_co_ci_u32 s59, s55, 0
	s_delay_alu instid0(SALU_CYCLE_1) | instskip(NEXT) | instid1(SALU_CYCLE_1)
	s_add_nc_u64 s[58:59], s[2:3], s[58:59]
	s_add_co_u32 s56, s56, s58
	s_cselect_b32 s1, -1, 0
	v_mul_hi_u32 v22, v12, s56
	s_cmp_lg_u32 s1, 0
	s_add_co_ci_u32 s2, s57, s59
	s_and_b64 s[58:59], s[56:57], s[36:37]
	v_mul_u64_e32 v[16:17], s[2:3], v[12:13]
	v_mul_u64_e32 v[10:11], s[58:59], v[18:19]
	;; [unrolled: 1-line block ×3, first 2 shown]
	s_delay_alu instid0(VALU_DEP_3) | instskip(NEXT) | instid1(VALU_DEP_1)
	v_add_nc_u64_e32 v[16:17], v[22:23], v[16:17]
	v_add_co_u32 v3, vcc_lo, v16, v10
	s_delay_alu instid0(VALU_DEP_2) | instskip(NEXT) | instid1(VALU_DEP_4)
	v_add_co_ci_u32_e32 v22, vcc_lo, v17, v11, vcc_lo
	v_add_co_ci_u32_e32 v21, vcc_lo, 0, v21, vcc_lo
	s_delay_alu instid0(VALU_DEP_1) | instskip(NEXT) | instid1(VALU_DEP_1)
	v_add_nc_u64_e32 v[10:11], v[22:23], v[20:21]
	v_mul_u64_e32 v[16:17], s[46:47], v[10:11]
	s_delay_alu instid0(VALU_DEP_1) | instskip(NEXT) | instid1(VALU_DEP_2)
	v_sub_nc_u32_e32 v3, v18, v17
	v_sub_co_u32 v5, vcc_lo, v12, v16
	s_delay_alu instid0(VALU_DEP_1) | instskip(NEXT) | instid1(VALU_DEP_3)
	v_sub_co_ci_u32_e64 v9, null, v18, v17, vcc_lo
	v_subrev_co_ci_u32_e64 v3, null, s47, v3, vcc_lo
	s_delay_alu instid0(VALU_DEP_3) | instskip(SKIP_1) | instid1(VALU_DEP_3)
	v_sub_co_u32 v7, s1, v5, s46
	v_add_nc_u64_e32 v[16:17], 1, v[10:11]
	v_subrev_co_ci_u32_e64 v3, null, 0, v3, s1
	s_delay_alu instid0(VALU_DEP_3) | instskip(SKIP_1) | instid1(VALU_DEP_3)
	v_cmp_le_u32_e32 vcc_lo, s46, v7
	v_cndmask_b32_e64 v7, 0, -1, vcc_lo
	v_cmp_le_u32_e32 vcc_lo, s47, v3
	v_cndmask_b32_e64 v12, 0, -1, vcc_lo
	v_cmp_le_u32_e32 vcc_lo, s46, v5
	v_cndmask_b32_e64 v5, 0, -1, vcc_lo
	v_cmp_le_u32_e32 vcc_lo, s47, v9
	v_cndmask_b32_e64 v15, 0, -1, vcc_lo
	v_cmp_eq_u32_e32 vcc_lo, s47, v3
	v_cndmask_b32_e32 v3, v12, v7, vcc_lo
	v_cmp_eq_u32_e32 vcc_lo, s47, v9
	v_add_nc_u64_e32 v[12:13], 2, v[10:11]
	v_dual_mov_b32 v9, v8 :: v_dual_cndmask_b32 v5, v15, v5, vcc_lo
	s_delay_alu instid0(VALU_DEP_4) | instskip(NEXT) | instid1(VALU_DEP_2)
	v_cmp_ne_u32_e32 vcc_lo, 0, v3
	v_cmp_ne_u32_e64 s1, 0, v5
	s_delay_alu instid0(VALU_DEP_4) | instskip(NEXT) | instid1(VALU_DEP_1)
	v_dual_cndmask_b32 v3, v17, v13, vcc_lo :: v_dual_cndmask_b32 v5, v16, v12, vcc_lo
	v_dual_cndmask_b32 v3, v11, v3, s1 :: v_dual_cndmask_b32 v5, v10, v5, s1
	s_delay_alu instid0(VALU_DEP_1) | instskip(NEXT) | instid1(VALU_DEP_2)
	v_xor_b32_e32 v11, v3, v8
	v_xor_b32_e32 v10, v5, v8
	s_delay_alu instid0(VALU_DEP_1)
	v_sub_nc_u64_e32 v[12:13], v[10:11], v[8:9]
.LBB15_14:                              ;   in Loop: Header=BB15_4 Depth=1
	s_and_not1_saveexec_b32 s1, s43
	s_cbranch_execz .LBB15_16
; %bb.15:                               ;   in Loop: Header=BB15_4 Depth=1
	v_cvt_f32_u32_e32 v3, s8
	s_sub_co_i32 s2, 0, s8
	s_delay_alu instid0(VALU_DEP_1) | instskip(SKIP_1) | instid1(TRANS32_DEP_1)
	v_rcp_iflag_f32_e32 v3, v3
	v_nop
	v_mul_f32_e32 v3, 0x4f7ffffe, v3
	s_delay_alu instid0(VALU_DEP_1) | instskip(NEXT) | instid1(VALU_DEP_1)
	v_cvt_u32_f32_e32 v3, v3
	v_mul_lo_u32 v5, s2, v3
	s_delay_alu instid0(VALU_DEP_1) | instskip(NEXT) | instid1(VALU_DEP_1)
	v_mul_hi_u32 v5, v3, v5
	v_add_nc_u32_e32 v3, v3, v5
	s_delay_alu instid0(VALU_DEP_1) | instskip(NEXT) | instid1(VALU_DEP_1)
	v_mul_hi_u32 v3, v6, v3
	v_mul_lo_u32 v5, v3, s8
	s_delay_alu instid0(VALU_DEP_1) | instskip(NEXT) | instid1(VALU_DEP_1)
	v_sub_nc_u32_e32 v5, v6, v5
	v_subrev_nc_u32_e32 v8, s8, v5
	v_cmp_le_u32_e32 vcc_lo, s8, v5
	s_delay_alu instid0(VALU_DEP_2) | instskip(NEXT) | instid1(VALU_DEP_1)
	v_dual_add_nc_u32 v7, 1, v3 :: v_dual_cndmask_b32 v5, v5, v8, vcc_lo
	v_cndmask_b32_e32 v3, v3, v7, vcc_lo
	s_delay_alu instid0(VALU_DEP_2) | instskip(NEXT) | instid1(VALU_DEP_2)
	v_cmp_le_u32_e32 vcc_lo, s8, v5
	v_add_nc_u32_e32 v7, 1, v3
	s_delay_alu instid0(VALU_DEP_1)
	v_cndmask_b32_e32 v12, v3, v7, vcc_lo
.LBB15_16:                              ;   in Loop: Header=BB15_4 Depth=1
	s_or_b32 exec_lo, exec_lo, s1
	v_mul_lo_u32 v3, v6, s10
	s_mov_b32 s1, exec_lo
	v_dual_mov_b32 v8, 0 :: v_dual_mov_b32 v10, 0
	s_delay_alu instid0(VALU_DEP_2) | instskip(NEXT) | instid1(VALU_DEP_1)
	v_sub_nc_u32_e32 v3, v4, v3
	v_add_nc_u32_e32 v3, s24, v3
	s_delay_alu instid0(VALU_DEP_1)
	v_cmpx_le_i32_e64 s20, v3
	s_cbranch_execz .LBB15_18
; %bb.17:                               ;   in Loop: Header=BB15_4 Depth=1
	v_subrev_nc_u32_e32 v10, s20, v3
	v_mov_b32_e32 v11, v2
	s_delay_alu instid0(VALU_DEP_1) | instskip(NEXT) | instid1(VALU_DEP_1)
	v_mul_u64_e32 v[16:17], s[30:31], v[10:11]
	v_mul_lo_u32 v5, v17, s33
	v_add_nc_u32_e32 v7, 1, v17
	s_delay_alu instid0(VALU_DEP_2) | instskip(NEXT) | instid1(VALU_DEP_1)
	v_sub_nc_u32_e32 v5, v10, v5
	v_cmp_le_u32_e32 vcc_lo, s33, v5
	s_delay_alu instid0(VALU_DEP_3) | instskip(SKIP_1) | instid1(VALU_DEP_1)
	v_cndmask_b32_e32 v7, v17, v7, vcc_lo
	v_subrev_nc_u32_e32 v9, s33, v5
	v_dual_cndmask_b32 v5, v5, v9, vcc_lo :: v_dual_add_nc_u32 v9, 1, v7
	s_delay_alu instid0(VALU_DEP_1) | instskip(NEXT) | instid1(VALU_DEP_2)
	v_cmp_le_u32_e32 vcc_lo, s33, v5
	v_cndmask_b32_e32 v5, v7, v9, vcc_lo
	s_delay_alu instid0(VALU_DEP_1) | instskip(NEXT) | instid1(VALU_DEP_1)
	v_xor_b32_e32 v5, s51, v5
	v_subrev_nc_u32_e32 v5, s51, v5
	s_delay_alu instid0(VALU_DEP_1)
	v_add_nc_u32_e32 v10, 1, v5
.LBB15_18:                              ;   in Loop: Header=BB15_4 Depth=1
	s_or_b32 exec_lo, exec_lo, s1
	v_mul_lo_u32 v4, v4, s12
	s_mov_b32 s1, exec_lo
	s_delay_alu instid0(VALU_DEP_1) | instskip(NEXT) | instid1(VALU_DEP_1)
	v_sub_nc_u32_e32 v4, v0, v4
	v_add_nc_u32_e32 v4, s25, v4
	s_delay_alu instid0(VALU_DEP_1)
	v_cmpx_le_i32_e64 s21, v4
	s_cbranch_execz .LBB15_20
; %bb.19:                               ;   in Loop: Header=BB15_4 Depth=1
	v_subrev_nc_u32_e32 v8, s21, v4
	v_mov_b32_e32 v9, v2
	s_delay_alu instid0(VALU_DEP_1) | instskip(NEXT) | instid1(VALU_DEP_1)
	v_mul_u64_e32 v[16:17], s[34:35], v[8:9]
	v_mul_lo_u32 v5, v17, s48
	s_delay_alu instid0(VALU_DEP_1) | instskip(NEXT) | instid1(VALU_DEP_1)
	v_sub_nc_u32_e32 v5, v8, v5
	v_subrev_nc_u32_e32 v8, s48, v5
	v_cmp_le_u32_e32 vcc_lo, s48, v5
	s_delay_alu instid0(VALU_DEP_2) | instskip(NEXT) | instid1(VALU_DEP_1)
	v_dual_add_nc_u32 v7, 1, v17 :: v_dual_cndmask_b32 v5, v5, v8, vcc_lo
	v_cndmask_b32_e32 v7, v17, v7, vcc_lo
	s_delay_alu instid0(VALU_DEP_2) | instskip(NEXT) | instid1(VALU_DEP_2)
	v_cmp_le_u32_e32 vcc_lo, s48, v5
	v_add_nc_u32_e32 v8, 1, v7
	s_delay_alu instid0(VALU_DEP_1) | instskip(NEXT) | instid1(VALU_DEP_1)
	v_cndmask_b32_e32 v5, v7, v8, vcc_lo
	v_xor_b32_e32 v5, s52, v5
	s_delay_alu instid0(VALU_DEP_1) | instskip(NEXT) | instid1(VALU_DEP_1)
	v_subrev_nc_u32_e32 v5, s52, v5
	v_add_nc_u32_e32 v8, 1, v5
.LBB15_20:                              ;   in Loop: Header=BB15_4 Depth=1
	s_or_b32 exec_lo, exec_lo, s1
	v_dual_sub_nc_u32 v5, 0, v3 :: v_dual_mov_b32 v17, v2
	s_mov_b32 s43, exec_lo
	s_delay_alu instid0(VALU_DEP_1) | instskip(NEXT) | instid1(VALU_DEP_1)
	v_max_i32_e32 v16, v3, v5
	v_mul_u64_e32 v[18:19], s[30:31], v[16:17]
	s_delay_alu instid0(VALU_DEP_1) | instskip(NEXT) | instid1(VALU_DEP_1)
	v_mul_lo_u32 v5, v19, s33
	v_dual_add_nc_u32 v7, 1, v19 :: v_dual_sub_nc_u32 v5, v16, v5
	s_delay_alu instid0(VALU_DEP_1) | instskip(NEXT) | instid1(VALU_DEP_2)
	v_cmp_le_u32_e32 vcc_lo, s33, v5
	v_cndmask_b32_e32 v7, v19, v7, vcc_lo
	v_subrev_nc_u32_e32 v9, s33, v5
	s_delay_alu instid0(VALU_DEP_1) | instskip(NEXT) | instid1(VALU_DEP_3)
	v_dual_ashrrev_i32 v3, 31, v3 :: v_dual_cndmask_b32 v5, v5, v9, vcc_lo
	v_add_nc_u32_e32 v9, 1, v7
	s_delay_alu instid0(VALU_DEP_2) | instskip(NEXT) | instid1(VALU_DEP_2)
	v_cmp_le_u32_e32 vcc_lo, s33, v5
	v_dual_cndmask_b32 v5, v7, v9, vcc_lo :: v_dual_bitop2_b32 v3, s51, v3 bitop3:0x14
	s_delay_alu instid0(VALU_DEP_1) | instskip(NEXT) | instid1(VALU_DEP_1)
	v_dual_mov_b32 v9, 0 :: v_dual_bitop2_b32 v5, v5, v3 bitop3:0x14
	v_sub_nc_u32_e32 v3, v5, v3
	s_delay_alu instid0(VALU_DEP_1) | instskip(NEXT) | instid1(VALU_DEP_1)
	v_add_min_i32_e64 v3, v3, 1, s14
	v_cmpx_lt_i32_e64 v10, v3
	s_cbranch_execz .LBB15_3
; %bb.21:                               ;   in Loop: Header=BB15_4 Depth=1
	v_dual_sub_nc_u32 v5, 0, v4 :: v_dual_mov_b32 v17, v2
	v_dual_ashrrev_i32 v11, 31, v10 :: v_dual_ashrrev_i32 v9, 31, v8
	v_mul_lo_u32 v15, s23, v8
	s_delay_alu instid0(VALU_DEP_3) | instskip(SKIP_1) | instid1(VALU_DEP_4)
	v_max_i32_e32 v16, v4, v5
	v_mul_lo_u32 v5, v12, s8
	v_lshlrev_b64_e32 v[20:21], 2, v[10:11]
	v_lshlrev_b64_e32 v[22:23], 2, v[8:9]
	s_mov_b32 s44, 0
	s_delay_alu instid0(VALU_DEP_3) | instskip(SKIP_1) | instid1(VALU_DEP_2)
	v_dual_ashrrev_i32 v4, 31, v4 :: v_dual_sub_nc_u32 v6, v6, v5
	v_mul_u64_e32 v[18:19], s[34:35], v[16:17]
	v_dual_ashrrev_i32 v5, 31, v12 :: v_dual_ashrrev_i32 v7, 31, v6
	s_delay_alu instid0(VALU_DEP_1) | instskip(NEXT) | instid1(VALU_DEP_1)
	v_mad_nc_u64_u32 v[6:7], v12, s8, v[6:7]
	v_mad_u32 v5, v5, s8, v7
	s_delay_alu instid0(VALU_DEP_2) | instskip(NEXT) | instid1(VALU_DEP_2)
	v_mad_nc_u64_u32 v[20:21], s38, v6, v[20:21]
	v_mad_u32 v5, v12, s9, v5
	v_mul_lo_u32 v11, v19, s48
	s_delay_alu instid0(VALU_DEP_3) | instskip(NEXT) | instid1(VALU_DEP_4)
	v_mad_u32 v12, s39, v6, v21
	v_mad_nc_u64_u32 v[6:7], s16, v20, v[22:23]
	s_delay_alu instid0(VALU_DEP_3) | instskip(SKIP_1) | instid1(VALU_DEP_4)
	v_sub_nc_u32_e32 v9, v16, v11
	v_add_nc_u32_e32 v11, 1, v19
	v_mad_u32 v5, s38, v5, v12
	s_delay_alu instid0(VALU_DEP_4)
	v_mad_u32 v7, s17, v20, v7
	v_add_nc_u32_e32 v12, s15, v15
	v_cmp_le_u32_e32 vcc_lo, s48, v9
	v_cndmask_b32_e32 v11, v19, v11, vcc_lo
	v_subrev_nc_u32_e32 v13, s48, v9
	v_mad_u32 v7, s16, v5, v7
	s_delay_alu instid0(VALU_DEP_2) | instskip(NEXT) | instid1(VALU_DEP_1)
	v_dual_cndmask_b32 v9, v9, v13, vcc_lo :: v_dual_add_nc_u32 v13, 1, v11
	v_cmp_le_u32_e32 vcc_lo, s48, v9
	s_delay_alu instid0(VALU_DEP_2) | instskip(SKIP_1) | instid1(VALU_DEP_2)
	v_dual_cndmask_b32 v9, v11, v13, vcc_lo :: v_dual_bitop2_b32 v4, s52, v4 bitop3:0x14
	v_dual_add_nc_u32 v13, s53, v15 :: v_dual_sub_nc_u32 v15, s25, v15
	v_xor_b32_e32 v9, v9, v4
	s_delay_alu instid0(VALU_DEP_1) | instskip(NEXT) | instid1(VALU_DEP_1)
	v_dual_mov_b32 v9, 0 :: v_dual_sub_nc_u32 v4, v9, v4
	v_add_min_i32_e64 v11, v4, 1, s16
	v_add_nc_u64_e32 v[4:5], s[6:7], v[6:7]
	s_delay_alu instid0(VALU_DEP_2)
	v_cmp_lt_i32_e64 s1, v8, v11
	s_branch .LBB15_24
.LBB15_22:                              ;   in Loop: Header=BB15_24 Depth=2
	s_or_b32 exec_lo, exec_lo, s46
.LBB15_23:                              ;   in Loop: Header=BB15_24 Depth=2
	s_delay_alu instid0(SALU_CYCLE_1) | instskip(SKIP_2) | instid1(VALU_DEP_2)
	s_or_b32 exec_lo, exec_lo, s45
	v_add_nc_u32_e32 v10, 1, v10
	v_add_nc_u64_e32 v[4:5], s[40:41], v[4:5]
	v_cmp_ge_i32_e32 vcc_lo, v10, v3
	s_or_b32 s44, vcc_lo, s44
	s_delay_alu instid0(SALU_CYCLE_1)
	s_and_not1_b32 exec_lo, exec_lo, s44
	s_cbranch_execz .LBB15_2
.LBB15_24:                              ;   Parent Loop BB15_4 Depth=1
                                        ; =>  This Loop Header: Depth=2
                                        ;       Child Loop BB15_27 Depth 3
	s_delay_alu instid0(VALU_DEP_1)
	s_and_saveexec_b32 s45, s1
	s_cbranch_execz .LBB15_23
; %bb.25:                               ;   in Loop: Header=BB15_24 Depth=2
	v_mul_lo_u32 v6, v10, s22
	s_mov_b32 s46, 0
	v_mov_b32_e32 v17, v13
	s_delay_alu instid0(VALU_DEP_2) | instskip(SKIP_2) | instid1(VALU_DEP_3)
	v_subrev_nc_u32_e32 v19, s24, v6
	v_mov_b32_e32 v16, v15
	v_mov_b64_e32 v[6:7], v[4:5]
	v_add_min_i32_e64 v20, v19, s20, s49
	v_max_i32_e32 v21, 0, v19
	s_delay_alu instid0(VALU_DEP_2) | instskip(SKIP_1) | instid1(VALU_DEP_2)
	v_dual_mov_b32 v18, v12 :: v_dual_min_i32 v22, s10, v20
	v_sub_nc_u32_e32 v19, v20, v19
	v_cmp_gt_i32_e64 s2, v22, v21
	v_dual_mov_b32 v21, v8 :: v_dual_sub_nc_u32 v20, v22, v21
	s_branch .LBB15_27
.LBB15_26:                              ;   in Loop: Header=BB15_27 Depth=3
	s_wait_xcnt 0x0
	s_or_b32 exec_lo, exec_lo, s47
	v_dual_add_nc_u32 v21, 1, v21 :: v_dual_add_nc_u32 v18, s23, v18
	v_add_nc_u64_e32 v[6:7], 4, v[6:7]
	v_add_nc_u32_e32 v17, s23, v17
	v_subrev_nc_u32_e32 v16, s23, v16
	s_delay_alu instid0(VALU_DEP_4) | instskip(SKIP_1) | instid1(SALU_CYCLE_1)
	v_cmp_ge_i32_e32 vcc_lo, v21, v11
	s_or_b32 s46, vcc_lo, s46
	s_and_not1_b32 exec_lo, exec_lo, s46
	s_cbranch_execz .LBB15_22
.LBB15_27:                              ;   Parent Loop BB15_4 Depth=1
                                        ;     Parent Loop BB15_24 Depth=2
                                        ; =>    This Inner Loop Header: Depth=3
	v_dual_add_nc_u32 v23, s21, v18 :: v_dual_max_i32 v22, 0, v18
	s_delay_alu instid0(VALU_DEP_1) | instskip(NEXT) | instid1(VALU_DEP_1)
	v_min3_i32 v23, v23, s50, s12
	v_cmp_gt_i32_e32 vcc_lo, v23, v22
	s_and_b32 s55, s2, vcc_lo
	s_delay_alu instid0(SALU_CYCLE_1)
	s_and_saveexec_b32 s47, s55
	s_cbranch_execz .LBB15_26
; %bb.28:                               ;   in Loop: Header=BB15_27 Depth=3
	global_load_b32 v24, v[6:7], off
	v_dual_sub_nc_u32 v22, v23, v22 :: v_dual_min_i32 v25, s50, v17
	s_delay_alu instid0(VALU_DEP_1) | instskip(NEXT) | instid1(VALU_DEP_2)
	v_add_nc_u32_e32 v23, v25, v16
	v_mul_lo_u32 v22, v22, v20
	s_delay_alu instid0(VALU_DEP_2) | instskip(NEXT) | instid1(VALU_DEP_1)
	v_mul_lo_u32 v23, v23, v19
	v_cndmask_b32_e64 v22, v22, v23, s0
	s_delay_alu instid0(VALU_DEP_1) | instskip(NEXT) | instid1(VALU_DEP_1)
	v_cndmask_b32_e64 v22, v22, s28, s29
	v_cvt_f32_i32_e32 v22, v22
	s_wait_loadcnt 0x0
	s_delay_alu instid0(VALU_DEP_1) | instskip(NEXT) | instid1(VALU_DEP_1)
	v_div_scale_f32 v23, null, v22, v22, v24
	v_rcp_f32_e32 v25, v23
	v_nop
	s_delay_alu instid0(TRANS32_DEP_1) | instskip(NEXT) | instid1(VALU_DEP_1)
	v_fma_f32 v26, -v23, v25, 1.0
	v_fmac_f32_e32 v25, v26, v25
	v_div_scale_f32 v26, vcc_lo, v24, v22, v24
	s_delay_alu instid0(VALU_DEP_1) | instskip(NEXT) | instid1(VALU_DEP_1)
	v_mul_f32_e32 v27, v26, v25
	v_fma_f32 v28, -v23, v27, v26
	s_delay_alu instid0(VALU_DEP_1) | instskip(NEXT) | instid1(VALU_DEP_1)
	v_fmac_f32_e32 v27, v28, v25
	v_fma_f32 v23, -v23, v27, v26
	s_delay_alu instid0(VALU_DEP_1) | instskip(NEXT) | instid1(VALU_DEP_1)
	v_div_fmas_f32 v23, v23, v25, v27
	v_div_fixup_f32 v22, v23, v22, v24
	s_delay_alu instid0(VALU_DEP_1)
	v_add_f32_e32 v9, v9, v22
	s_branch .LBB15_26
.LBB15_29:
	s_endpgm
	.section	.rodata,"a",@progbits
	.p2align	6, 0x0
	.amdhsa_kernel _ZN2at6native12_GLOBAL__N_134avg_pool2d_backward_out_cuda_frameIfflEEvT1_PKT_llllliiiiiiPS4_ibb
		.amdhsa_group_segment_fixed_size 0
		.amdhsa_private_segment_fixed_size 0
		.amdhsa_kernarg_size 352
		.amdhsa_user_sgpr_count 2
		.amdhsa_user_sgpr_dispatch_ptr 0
		.amdhsa_user_sgpr_queue_ptr 0
		.amdhsa_user_sgpr_kernarg_segment_ptr 1
		.amdhsa_user_sgpr_dispatch_id 0
		.amdhsa_user_sgpr_kernarg_preload_length 0
		.amdhsa_user_sgpr_kernarg_preload_offset 0
		.amdhsa_user_sgpr_private_segment_size 0
		.amdhsa_wavefront_size32 1
		.amdhsa_uses_dynamic_stack 0
		.amdhsa_enable_private_segment 0
		.amdhsa_system_sgpr_workgroup_id_x 1
		.amdhsa_system_sgpr_workgroup_id_y 0
		.amdhsa_system_sgpr_workgroup_id_z 0
		.amdhsa_system_sgpr_workgroup_info 0
		.amdhsa_system_vgpr_workitem_id 0
		.amdhsa_next_free_vgpr 29
		.amdhsa_next_free_sgpr 64
		.amdhsa_named_barrier_count 0
		.amdhsa_reserve_vcc 1
		.amdhsa_float_round_mode_32 0
		.amdhsa_float_round_mode_16_64 0
		.amdhsa_float_denorm_mode_32 3
		.amdhsa_float_denorm_mode_16_64 3
		.amdhsa_fp16_overflow 0
		.amdhsa_memory_ordered 1
		.amdhsa_forward_progress 1
		.amdhsa_inst_pref_size 30
		.amdhsa_round_robin_scheduling 0
		.amdhsa_exception_fp_ieee_invalid_op 0
		.amdhsa_exception_fp_denorm_src 0
		.amdhsa_exception_fp_ieee_div_zero 0
		.amdhsa_exception_fp_ieee_overflow 0
		.amdhsa_exception_fp_ieee_underflow 0
		.amdhsa_exception_fp_ieee_inexact 0
		.amdhsa_exception_int_div_zero 0
	.end_amdhsa_kernel
	.section	.text._ZN2at6native12_GLOBAL__N_134avg_pool2d_backward_out_cuda_frameIfflEEvT1_PKT_llllliiiiiiPS4_ibb,"axG",@progbits,_ZN2at6native12_GLOBAL__N_134avg_pool2d_backward_out_cuda_frameIfflEEvT1_PKT_llllliiiiiiPS4_ibb,comdat
.Lfunc_end15:
	.size	_ZN2at6native12_GLOBAL__N_134avg_pool2d_backward_out_cuda_frameIfflEEvT1_PKT_llllliiiiiiPS4_ibb, .Lfunc_end15-_ZN2at6native12_GLOBAL__N_134avg_pool2d_backward_out_cuda_frameIfflEEvT1_PKT_llllliiiiiiPS4_ibb
                                        ; -- End function
	.set _ZN2at6native12_GLOBAL__N_134avg_pool2d_backward_out_cuda_frameIfflEEvT1_PKT_llllliiiiiiPS4_ibb.num_vgpr, 29
	.set _ZN2at6native12_GLOBAL__N_134avg_pool2d_backward_out_cuda_frameIfflEEvT1_PKT_llllliiiiiiPS4_ibb.num_agpr, 0
	.set _ZN2at6native12_GLOBAL__N_134avg_pool2d_backward_out_cuda_frameIfflEEvT1_PKT_llllliiiiiiPS4_ibb.numbered_sgpr, 64
	.set _ZN2at6native12_GLOBAL__N_134avg_pool2d_backward_out_cuda_frameIfflEEvT1_PKT_llllliiiiiiPS4_ibb.num_named_barrier, 0
	.set _ZN2at6native12_GLOBAL__N_134avg_pool2d_backward_out_cuda_frameIfflEEvT1_PKT_llllliiiiiiPS4_ibb.private_seg_size, 0
	.set _ZN2at6native12_GLOBAL__N_134avg_pool2d_backward_out_cuda_frameIfflEEvT1_PKT_llllliiiiiiPS4_ibb.uses_vcc, 1
	.set _ZN2at6native12_GLOBAL__N_134avg_pool2d_backward_out_cuda_frameIfflEEvT1_PKT_llllliiiiiiPS4_ibb.uses_flat_scratch, 0
	.set _ZN2at6native12_GLOBAL__N_134avg_pool2d_backward_out_cuda_frameIfflEEvT1_PKT_llllliiiiiiPS4_ibb.has_dyn_sized_stack, 0
	.set _ZN2at6native12_GLOBAL__N_134avg_pool2d_backward_out_cuda_frameIfflEEvT1_PKT_llllliiiiiiPS4_ibb.has_recursion, 0
	.set _ZN2at6native12_GLOBAL__N_134avg_pool2d_backward_out_cuda_frameIfflEEvT1_PKT_llllliiiiiiPS4_ibb.has_indirect_call, 0
	.section	.AMDGPU.csdata,"",@progbits
; Kernel info:
; codeLenInByte = 3776
; TotalNumSgprs: 66
; NumVgprs: 29
; ScratchSize: 0
; MemoryBound: 0
; FloatMode: 240
; IeeeMode: 1
; LDSByteSize: 0 bytes/workgroup (compile time only)
; SGPRBlocks: 0
; VGPRBlocks: 1
; NumSGPRsForWavesPerEU: 66
; NumVGPRsForWavesPerEU: 29
; NamedBarCnt: 0
; Occupancy: 16
; WaveLimiterHint : 0
; COMPUTE_PGM_RSRC2:SCRATCH_EN: 0
; COMPUTE_PGM_RSRC2:USER_SGPR: 2
; COMPUTE_PGM_RSRC2:TRAP_HANDLER: 0
; COMPUTE_PGM_RSRC2:TGID_X_EN: 1
; COMPUTE_PGM_RSRC2:TGID_Y_EN: 0
; COMPUTE_PGM_RSRC2:TGID_Z_EN: 0
; COMPUTE_PGM_RSRC2:TIDIG_COMP_CNT: 0
	.section	.text._ZN2at6native12_GLOBAL__N_139avg_pool2d_backward_out_cuda_frame_nhwcIN3c104HalfEfiEEvT1_PKT_llliiiiiiiiPS6_ibb,"axG",@progbits,_ZN2at6native12_GLOBAL__N_139avg_pool2d_backward_out_cuda_frame_nhwcIN3c104HalfEfiEEvT1_PKT_llliiiiiiiiPS6_ibb,comdat
	.globl	_ZN2at6native12_GLOBAL__N_139avg_pool2d_backward_out_cuda_frame_nhwcIN3c104HalfEfiEEvT1_PKT_llliiiiiiiiPS6_ibb ; -- Begin function _ZN2at6native12_GLOBAL__N_139avg_pool2d_backward_out_cuda_frame_nhwcIN3c104HalfEfiEEvT1_PKT_llliiiiiiiiPS6_ibb
	.p2align	8
	.type	_ZN2at6native12_GLOBAL__N_139avg_pool2d_backward_out_cuda_frame_nhwcIN3c104HalfEfiEEvT1_PKT_llliiiiiiiiPS6_ibb,@function
_ZN2at6native12_GLOBAL__N_139avg_pool2d_backward_out_cuda_frame_nhwcIN3c104HalfEfiEEvT1_PKT_llliiiiiiiiPS6_ibb: ; @_ZN2at6native12_GLOBAL__N_139avg_pool2d_backward_out_cuda_frame_nhwcIN3c104HalfEfiEEvT1_PKT_llliiiiiiiiPS6_ibb
; %bb.0:
	s_clause 0x1
	s_load_b32 s24, s[0:1], 0x0
	s_load_b32 s2, s[0:1], 0x64
	s_bfe_u32 s3, ttmp6, 0x4000c
	v_mov_b32_e32 v2, 0
	s_add_co_i32 s3, s3, 1
	s_and_b32 s4, ttmp6, 15
	s_mul_i32 s3, ttmp9, s3
	s_getreg_b32 s5, hwreg(HW_REG_IB_STS2, 6, 4)
	v_mov_b32_e32 v1, v2
	s_add_co_i32 s4, s4, s3
	s_wait_kmcnt 0x0
	s_ashr_i32 s25, s24, 31
	s_and_b32 s2, s2, 0xffff
	s_cmp_eq_u32 s5, 0
	s_cselect_b32 s3, ttmp9, s4
	s_mov_b32 s4, exec_lo
	v_mad_nc_u64_u32 v[0:1], s2, s3, v[0:1]
	s_mov_b32 s3, 0
	s_delay_alu instid0(VALU_DEP_1)
	v_cmpx_gt_i64_e64 s[24:25], v[0:1]
	s_cbranch_execz .LBB16_29
; %bb.1:
	s_clause 0x2
	s_load_b128 s[20:23], s[0:1], 0x48
	s_load_b256 s[4:11], s[0:1], 0x28
	s_load_b256 s[12:19], s[0:1], 0x8
	s_add_nc_u64 s[26:27], s[0:1], 0x58
	s_load_b32 s28, s[0:1], 0x54
	s_load_b32 s30, s[26:27], 0x0
	s_wait_xcnt 0x0
	s_mov_b32 s27, s3
	s_mov_b32 s29, s3
	;; [unrolled: 1-line block ×3, first 2 shown]
	s_mov_b64 s[34:35], 0xffffffff
	s_mov_b32 s51, 0
	s_wait_kmcnt 0x0
	s_bitcmp1_b32 s23, 0
	s_mov_b32 s38, s4
	s_cselect_b32 s0, -1, 0
	s_bitcmp1_b32 s28, 8
	s_mul_i32 s26, s30, s2
	s_cselect_b32 s23, -1, 0
	s_abs_i32 s33, s8
	s_abs_i32 s44, s9
	s_cvt_f32_u32 s1, s33
	s_cvt_f32_u32 s2, s44
	v_cvt_f32_u32_e32 v3, s14
	s_sub_co_i32 s28, 0, s33
	v_rcp_iflag_f32_e32 v4, s1
	v_rcp_iflag_f32_e32 v5, s2
	s_sub_co_i32 s30, 0, s44
	v_rcp_iflag_f32_e32 v3, v3
	s_ashr_i32 s39, s4, 31
	s_mov_b32 s40, s5
	s_ashr_i32 s41, s5, 31
	v_readfirstlane_b32 s1, v4
	v_readfirstlane_b32 s2, v5
	s_mul_u64 s[38:39], s[14:15], s[38:39]
	v_mul_f32_e32 v3, 0x4f7ffffe, v3
	s_add_co_i32 s45, s10, s16
	s_mul_f32 s1, s1, 0x4f7ffffe
	s_mul_f32 s2, s2, 0x4f7ffffe
	s_add_co_i32 s46, s11, s18
	v_cvt_u32_f32_e32 v10, v3
	s_cvt_u32_f32 s1, s1
	s_cvt_u32_f32 s2, s2
	s_ashr_i32 s47, s8, 31
	s_ashr_i32 s48, s9, 31
	s_mul_i32 s28, s28, s1
	s_mul_i32 s30, s30, s2
	s_mul_hi_u32 s28, s1, s28
	s_mul_hi_u32 s30, s2, s30
	s_sub_co_i32 s49, 0, s11
	s_sub_co_i32 s50, s7, s11
	s_ashr_i32 s36, s15, 31
	s_mul_u64 s[38:39], s[38:39], s[40:41]
	s_add_co_i32 s28, s1, s28
	s_add_co_i32 s30, s2, s30
	s_branch .LBB16_4
.LBB16_2:                               ;   in Loop: Header=BB16_4 Depth=1
	s_or_b32 exec_lo, exec_lo, s40
	v_cvt_f16_f32_e32 v12, v14
.LBB16_3:                               ;   in Loop: Header=BB16_4 Depth=1
	s_or_b32 exec_lo, exec_lo, s37
	v_lshl_add_u64 v[4:5], v[0:1], 1, s[20:21]
	v_add_nc_u64_e32 v[0:1], s[26:27], v[0:1]
	global_store_b16 v[4:5], v12, off
	v_cmp_le_i64_e32 vcc_lo, s[24:25], v[0:1]
	s_or_b32 s51, vcc_lo, s51
	s_wait_xcnt 0x0
	s_and_not1_b32 exec_lo, exec_lo, s51
	s_cbranch_execz .LBB16_29
.LBB16_4:                               ; =>This Loop Header: Depth=1
                                        ;     Child Loop BB16_24 Depth 2
                                        ;       Child Loop BB16_27 Depth 3
	v_or_b32_e32 v3, s15, v1
                                        ; implicit-def: $vgpr4_vgpr5
	s_mov_b32 s1, exec_lo
	s_delay_alu instid0(VALU_DEP_1)
	v_cmpx_ne_u64_e32 0, v[2:3]
	s_xor_b32 s42, exec_lo, s1
	s_cbranch_execz .LBB16_6
; %bb.5:                                ;   in Loop: Header=BB16_4 Depth=1
	s_mov_b32 s37, s36
	v_dual_mov_b32 v9, v2 :: v_dual_ashrrev_i32 v4, 31, v1
	s_add_nc_u64 s[40:41], s[14:15], s[36:37]
	v_mov_b32_e32 v19, v2
	s_xor_b64 s[40:41], s[40:41], s[36:37]
	s_delay_alu instid0(VALU_DEP_2) | instskip(SKIP_3) | instid1(VALU_DEP_1)
	v_mov_b32_e32 v5, v4
	s_cvt_f32_u32 s1, s40
	s_cvt_f32_u32 s2, s41
	s_sub_nc_u64 s[54:55], 0, s[40:41]
	v_add_nc_u64_e32 v[6:7], v[0:1], v[4:5]
	s_delay_alu instid0(SALU_CYCLE_1) | instskip(SKIP_1) | instid1(SALU_CYCLE_2)
	s_fmamk_f32 s1, s2, 0x4f800000, s1
	v_mov_b32_e32 v15, v2
	v_s_rcp_f32 s1, s1
	s_delay_alu instid0(VALU_DEP_2) | instskip(NEXT) | instid1(VALU_DEP_3)
	v_xor_b32_e32 v8, v6, v4
	v_xor_b32_e32 v14, v7, v4
	;; [unrolled: 1-line block ×3, first 2 shown]
	s_delay_alu instid0(TRANS32_DEP_1) | instskip(NEXT) | instid1(SALU_CYCLE_3)
	s_mul_f32 s1, s1, 0x5f7ffffc
	s_mul_f32 s2, s1, 0x2f800000
	s_delay_alu instid0(SALU_CYCLE_3) | instskip(NEXT) | instid1(SALU_CYCLE_3)
	s_trunc_f32 s2, s2
	s_fmamk_f32 s1, s2, 0xcf800000, s1
	s_cvt_u32_f32 s53, s2
	s_delay_alu instid0(SALU_CYCLE_2) | instskip(NEXT) | instid1(SALU_CYCLE_3)
	s_cvt_u32_f32 s52, s1
	s_mul_u64 s[56:57], s[54:55], s[52:53]
	s_delay_alu instid0(SALU_CYCLE_1)
	s_mul_hi_u32 s59, s52, s57
	s_mul_i32 s58, s52, s57
	s_mul_hi_u32 s2, s52, s56
	s_mul_i32 s37, s53, s56
	s_add_nc_u64 s[58:59], s[2:3], s[58:59]
	s_mul_hi_u32 s1, s53, s56
	s_mul_hi_u32 s43, s53, s57
	s_add_co_u32 s2, s58, s37
	s_add_co_ci_u32 s2, s59, s1
	s_mul_i32 s56, s53, s57
	s_add_co_ci_u32 s57, s43, 0
	s_delay_alu instid0(SALU_CYCLE_1) | instskip(NEXT) | instid1(SALU_CYCLE_1)
	s_add_nc_u64 s[56:57], s[2:3], s[56:57]
	s_add_co_u32 s52, s52, s56
	s_cselect_b32 s1, -1, 0
	s_delay_alu instid0(SALU_CYCLE_1) | instskip(SKIP_1) | instid1(SALU_CYCLE_1)
	s_cmp_lg_u32 s1, 0
	s_add_co_ci_u32 s53, s53, s57
	s_mul_u64 s[54:55], s[54:55], s[52:53]
	s_delay_alu instid0(SALU_CYCLE_1)
	s_mul_hi_u32 s57, s52, s55
	s_mul_i32 s56, s52, s55
	s_mul_hi_u32 s2, s52, s54
	s_mul_i32 s37, s53, s54
	s_add_nc_u64 s[56:57], s[2:3], s[56:57]
	s_mul_hi_u32 s1, s53, s54
	s_mul_hi_u32 s43, s53, s55
	s_add_co_u32 s2, s56, s37
	s_add_co_ci_u32 s2, s57, s1
	s_mul_i32 s54, s53, s55
	s_add_co_ci_u32 s55, s43, 0
	s_delay_alu instid0(SALU_CYCLE_1) | instskip(NEXT) | instid1(SALU_CYCLE_1)
	s_add_nc_u64 s[54:55], s[2:3], s[54:55]
	s_add_co_u32 s52, s52, s54
	s_cselect_b32 s1, -1, 0
	v_mul_hi_u32 v18, v8, s52
	s_cmp_lg_u32 s1, 0
	s_add_co_ci_u32 s2, s53, s55
	s_and_b64 s[54:55], s[52:53], s[34:35]
	v_mul_u64_e32 v[12:13], s[2:3], v[8:9]
	v_mul_u64_e32 v[6:7], s[54:55], v[14:15]
	;; [unrolled: 1-line block ×3, first 2 shown]
	s_delay_alu instid0(VALU_DEP_3) | instskip(NEXT) | instid1(VALU_DEP_1)
	v_add_nc_u64_e32 v[12:13], v[18:19], v[12:13]
	v_add_co_u32 v3, vcc_lo, v12, v6
	s_delay_alu instid0(VALU_DEP_2) | instskip(NEXT) | instid1(VALU_DEP_4)
	v_add_co_ci_u32_e32 v18, vcc_lo, v13, v7, vcc_lo
	v_add_co_ci_u32_e32 v17, vcc_lo, 0, v17, vcc_lo
	s_delay_alu instid0(VALU_DEP_1) | instskip(NEXT) | instid1(VALU_DEP_1)
	v_add_nc_u64_e32 v[6:7], v[18:19], v[16:17]
	v_mul_u64_e32 v[12:13], s[40:41], v[6:7]
	s_delay_alu instid0(VALU_DEP_1) | instskip(NEXT) | instid1(VALU_DEP_2)
	v_sub_nc_u32_e32 v3, v14, v13
	v_sub_co_u32 v5, vcc_lo, v8, v12
	s_delay_alu instid0(VALU_DEP_1) | instskip(NEXT) | instid1(VALU_DEP_3)
	v_sub_co_ci_u32_e64 v11, null, v14, v13, vcc_lo
	v_subrev_co_ci_u32_e64 v3, null, s41, v3, vcc_lo
	s_delay_alu instid0(VALU_DEP_3) | instskip(SKIP_1) | instid1(VALU_DEP_3)
	v_sub_co_u32 v8, s1, v5, s40
	v_add_nc_u64_e32 v[12:13], 1, v[6:7]
	v_subrev_co_ci_u32_e64 v3, null, 0, v3, s1
	s_delay_alu instid0(VALU_DEP_3) | instskip(SKIP_1) | instid1(VALU_DEP_3)
	v_cmp_le_u32_e32 vcc_lo, s40, v8
	v_cndmask_b32_e64 v8, 0, -1, vcc_lo
	v_cmp_le_u32_e32 vcc_lo, s41, v3
	v_cndmask_b32_e64 v9, 0, -1, vcc_lo
	;; [unrolled: 2-line block ×4, first 2 shown]
	v_cmp_eq_u32_e32 vcc_lo, s41, v3
	v_cndmask_b32_e32 v3, v9, v8, vcc_lo
	v_cmp_eq_u32_e32 vcc_lo, s41, v11
	v_add_nc_u64_e32 v[8:9], 2, v[6:7]
	v_cndmask_b32_e32 v5, v14, v5, vcc_lo
	s_delay_alu instid0(VALU_DEP_4) | instskip(NEXT) | instid1(VALU_DEP_2)
	v_cmp_ne_u32_e32 vcc_lo, 0, v3
	v_cmp_ne_u32_e64 s1, 0, v5
	s_delay_alu instid0(VALU_DEP_4) | instskip(NEXT) | instid1(VALU_DEP_1)
	v_dual_cndmask_b32 v3, v13, v9, vcc_lo :: v_dual_cndmask_b32 v5, v12, v8, vcc_lo
	v_dual_cndmask_b32 v6, v6, v5, s1 :: v_dual_mov_b32 v5, v4
	s_delay_alu instid0(VALU_DEP_1) | instskip(NEXT) | instid1(VALU_DEP_1)
	v_dual_cndmask_b32 v3, v7, v3, s1 :: v_dual_bitop2_b32 v6, v6, v4 bitop3:0x14
	v_xor_b32_e32 v7, v3, v4
	s_delay_alu instid0(VALU_DEP_1)
	v_sub_nc_u64_e32 v[4:5], v[6:7], v[4:5]
.LBB16_6:                               ;   in Loop: Header=BB16_4 Depth=1
	s_and_not1_saveexec_b32 s1, s42
	s_cbranch_execz .LBB16_8
; %bb.7:                                ;   in Loop: Header=BB16_4 Depth=1
	s_sub_co_i32 s2, 0, s14
	s_delay_alu instid0(SALU_CYCLE_1) | instskip(NEXT) | instid1(VALU_DEP_1)
	v_mul_lo_u32 v3, s2, v10
	v_mul_hi_u32 v3, v10, v3
	s_delay_alu instid0(VALU_DEP_1) | instskip(NEXT) | instid1(VALU_DEP_1)
	v_add_nc_u32_e32 v3, v10, v3
	v_mul_hi_u32 v3, v0, v3
	s_delay_alu instid0(VALU_DEP_1) | instskip(NEXT) | instid1(VALU_DEP_1)
	v_mul_lo_u32 v4, v3, s14
	v_sub_nc_u32_e32 v4, v0, v4
	s_delay_alu instid0(VALU_DEP_1) | instskip(SKIP_1) | instid1(VALU_DEP_2)
	v_subrev_nc_u32_e32 v6, s14, v4
	v_cmp_le_u32_e32 vcc_lo, s14, v4
	v_dual_cndmask_b32 v4, v4, v6 :: v_dual_add_nc_u32 v5, 1, v3
	s_delay_alu instid0(VALU_DEP_1) | instskip(NEXT) | instid1(VALU_DEP_2)
	v_cndmask_b32_e32 v3, v3, v5, vcc_lo
	v_cmp_le_u32_e32 vcc_lo, s14, v4
	s_delay_alu instid0(VALU_DEP_2) | instskip(NEXT) | instid1(VALU_DEP_1)
	v_add_nc_u32_e32 v5, 1, v3
	v_dual_cndmask_b32 v4, v3, v5 :: v_dual_mov_b32 v5, v2
.LBB16_8:                               ;   in Loop: Header=BB16_4 Depth=1
	s_or_b32 exec_lo, exec_lo, s1
	s_delay_alu instid0(VALU_DEP_1) | instskip(SKIP_1) | instid1(VALU_DEP_1)
	v_or_b32_e32 v3, s19, v5
                                        ; implicit-def: $vgpr6_vgpr7
	s_mov_b32 s1, exec_lo
	v_cmpx_ne_u64_e32 0, v[2:3]
	s_xor_b32 s37, exec_lo, s1
	s_cbranch_execz .LBB16_10
; %bb.9:                                ;   in Loop: Header=BB16_4 Depth=1
	s_ashr_i32 s40, s19, 31
	v_dual_mov_b32 v13, v2 :: v_dual_ashrrev_i32 v6, 31, v5
	s_mov_b32 s41, s40
	s_delay_alu instid0(SALU_CYCLE_1) | instskip(NEXT) | instid1(VALU_DEP_1)
	s_add_nc_u64 s[42:43], s[18:19], s[40:41]
	v_mov_b32_e32 v7, v6
	s_xor_b64 s[42:43], s[42:43], s[40:41]
	s_delay_alu instid0(SALU_CYCLE_1)
	s_cvt_f32_u32 s1, s42
	s_cvt_f32_u32 s2, s43
	s_sub_nc_u64 s[54:55], 0, s[42:43]
	v_add_nc_u64_e32 v[8:9], v[4:5], v[6:7]
	v_mov_b32_e32 v17, v2
	s_fmamk_f32 s1, s2, 0x4f800000, s1
	s_delay_alu instid0(SALU_CYCLE_3) | instskip(NEXT) | instid1(VALU_DEP_2)
	v_s_rcp_f32 s1, s1
	v_xor_b32_e32 v12, v8, v6
	s_delay_alu instid0(VALU_DEP_3) | instskip(NEXT) | instid1(TRANS32_DEP_1)
	v_dual_mov_b32 v21, v2 :: v_dual_bitop2_b32 v16, v9, v6 bitop3:0x14
	s_mul_f32 s1, s1, 0x5f7ffffc
	s_delay_alu instid0(SALU_CYCLE_3) | instskip(NEXT) | instid1(SALU_CYCLE_3)
	s_mul_f32 s2, s1, 0x2f800000
	s_trunc_f32 s2, s2
	s_delay_alu instid0(SALU_CYCLE_3) | instskip(SKIP_1) | instid1(SALU_CYCLE_2)
	s_fmamk_f32 s1, s2, 0xcf800000, s1
	s_cvt_u32_f32 s53, s2
	s_cvt_u32_f32 s52, s1
	s_delay_alu instid0(SALU_CYCLE_3) | instskip(NEXT) | instid1(SALU_CYCLE_1)
	s_mul_u64 s[56:57], s[54:55], s[52:53]
	s_mul_hi_u32 s59, s52, s57
	s_mul_i32 s58, s52, s57
	s_mul_hi_u32 s2, s52, s56
	s_mul_i32 s41, s53, s56
	s_add_nc_u64 s[58:59], s[2:3], s[58:59]
	s_mul_hi_u32 s1, s53, s56
	s_mul_hi_u32 s60, s53, s57
	s_add_co_u32 s2, s58, s41
	s_add_co_ci_u32 s2, s59, s1
	s_mul_i32 s56, s53, s57
	s_add_co_ci_u32 s57, s60, 0
	s_delay_alu instid0(SALU_CYCLE_1) | instskip(NEXT) | instid1(SALU_CYCLE_1)
	s_add_nc_u64 s[56:57], s[2:3], s[56:57]
	s_add_co_u32 s52, s52, s56
	s_cselect_b32 s1, -1, 0
	s_delay_alu instid0(SALU_CYCLE_1) | instskip(SKIP_1) | instid1(SALU_CYCLE_1)
	s_cmp_lg_u32 s1, 0
	s_add_co_ci_u32 s53, s53, s57
	s_mul_u64 s[54:55], s[54:55], s[52:53]
	s_delay_alu instid0(SALU_CYCLE_1)
	s_mul_hi_u32 s57, s52, s55
	s_mul_i32 s56, s52, s55
	s_mul_hi_u32 s2, s52, s54
	s_mul_i32 s41, s53, s54
	s_add_nc_u64 s[56:57], s[2:3], s[56:57]
	s_mul_hi_u32 s1, s53, s54
	s_mul_hi_u32 s58, s53, s55
	s_add_co_u32 s2, s56, s41
	s_add_co_ci_u32 s2, s57, s1
	s_mul_i32 s54, s53, s55
	s_add_co_ci_u32 s55, s58, 0
	s_delay_alu instid0(SALU_CYCLE_1) | instskip(NEXT) | instid1(SALU_CYCLE_1)
	s_add_nc_u64 s[54:55], s[2:3], s[54:55]
	s_add_co_u32 s52, s52, s54
	s_cselect_b32 s1, -1, 0
	v_mul_hi_u32 v20, v12, s52
	s_cmp_lg_u32 s1, 0
	s_add_co_ci_u32 s2, s53, s55
	s_and_b64 s[54:55], s[52:53], s[34:35]
	v_mul_u64_e32 v[14:15], s[2:3], v[12:13]
	v_mul_u64_e32 v[8:9], s[54:55], v[16:17]
	;; [unrolled: 1-line block ×3, first 2 shown]
	s_delay_alu instid0(VALU_DEP_3) | instskip(NEXT) | instid1(VALU_DEP_1)
	v_add_nc_u64_e32 v[14:15], v[20:21], v[14:15]
	v_add_co_u32 v3, vcc_lo, v14, v8
	s_delay_alu instid0(VALU_DEP_2) | instskip(NEXT) | instid1(VALU_DEP_4)
	v_add_co_ci_u32_e32 v20, vcc_lo, v15, v9, vcc_lo
	v_add_co_ci_u32_e32 v19, vcc_lo, 0, v19, vcc_lo
	s_delay_alu instid0(VALU_DEP_1) | instskip(NEXT) | instid1(VALU_DEP_1)
	v_add_nc_u64_e32 v[8:9], v[20:21], v[18:19]
	v_mul_u64_e32 v[14:15], s[42:43], v[8:9]
	s_delay_alu instid0(VALU_DEP_1) | instskip(NEXT) | instid1(VALU_DEP_2)
	v_sub_nc_u32_e32 v3, v16, v15
	v_sub_co_u32 v7, vcc_lo, v12, v14
	s_delay_alu instid0(VALU_DEP_1) | instskip(NEXT) | instid1(VALU_DEP_3)
	v_sub_co_ci_u32_e64 v16, null, v16, v15, vcc_lo
	v_subrev_co_ci_u32_e64 v3, null, s43, v3, vcc_lo
	s_delay_alu instid0(VALU_DEP_3) | instskip(SKIP_1) | instid1(VALU_DEP_3)
	v_sub_co_u32 v11, s1, v7, s42
	v_add_nc_u64_e32 v[14:15], 1, v[8:9]
	v_subrev_co_ci_u32_e64 v3, null, 0, v3, s1
	s_delay_alu instid0(VALU_DEP_3) | instskip(SKIP_1) | instid1(VALU_DEP_3)
	v_cmp_le_u32_e32 vcc_lo, s42, v11
	v_cndmask_b32_e64 v11, 0, -1, vcc_lo
	v_cmp_le_u32_e32 vcc_lo, s43, v3
	v_cndmask_b32_e64 v12, 0, -1, vcc_lo
	;; [unrolled: 2-line block ×4, first 2 shown]
	v_cmp_eq_u32_e32 vcc_lo, s43, v3
	v_cndmask_b32_e32 v3, v12, v11, vcc_lo
	v_cmp_eq_u32_e32 vcc_lo, s43, v16
	v_add_nc_u64_e32 v[12:13], 2, v[8:9]
	v_cndmask_b32_e32 v7, v17, v7, vcc_lo
	s_delay_alu instid0(VALU_DEP_4) | instskip(NEXT) | instid1(VALU_DEP_3)
	v_cmp_ne_u32_e32 vcc_lo, 0, v3
	v_cndmask_b32_e32 v3, v15, v13, vcc_lo
	s_delay_alu instid0(VALU_DEP_3) | instskip(SKIP_1) | instid1(VALU_DEP_2)
	v_cmp_ne_u32_e64 s1, 0, v7
	v_dual_cndmask_b32 v7, v14, v12, vcc_lo :: v_dual_bitop2_b32 v6, s40, v6 bitop3:0x14
	v_cndmask_b32_e64 v3, v9, v3, s1
	s_delay_alu instid0(VALU_DEP_2) | instskip(NEXT) | instid1(VALU_DEP_2)
	v_dual_cndmask_b32 v8, v8, v7, s1 :: v_dual_mov_b32 v7, v6
	v_xor_b32_e32 v9, v3, v6
	s_delay_alu instid0(VALU_DEP_2) | instskip(NEXT) | instid1(VALU_DEP_1)
	v_xor_b32_e32 v8, v8, v6
	v_sub_nc_u64_e32 v[6:7], v[8:9], v[6:7]
.LBB16_10:                              ;   in Loop: Header=BB16_4 Depth=1
	s_and_not1_saveexec_b32 s1, s37
	s_cbranch_execz .LBB16_12
; %bb.11:                               ;   in Loop: Header=BB16_4 Depth=1
	v_cvt_f32_u32_e32 v3, s18
	s_sub_co_i32 s2, 0, s18
	s_delay_alu instid0(VALU_DEP_1) | instskip(SKIP_1) | instid1(TRANS32_DEP_1)
	v_rcp_iflag_f32_e32 v3, v3
	v_nop
	v_mul_f32_e32 v3, 0x4f7ffffe, v3
	s_delay_alu instid0(VALU_DEP_1) | instskip(NEXT) | instid1(VALU_DEP_1)
	v_cvt_u32_f32_e32 v3, v3
	v_mul_lo_u32 v6, s2, v3
	s_delay_alu instid0(VALU_DEP_1) | instskip(NEXT) | instid1(VALU_DEP_1)
	v_mul_hi_u32 v6, v3, v6
	v_add_nc_u32_e32 v3, v3, v6
	s_delay_alu instid0(VALU_DEP_1) | instskip(NEXT) | instid1(VALU_DEP_1)
	v_mul_hi_u32 v3, v4, v3
	v_mul_lo_u32 v6, v3, s18
	s_delay_alu instid0(VALU_DEP_1) | instskip(NEXT) | instid1(VALU_DEP_1)
	v_dual_add_nc_u32 v7, 1, v3 :: v_dual_sub_nc_u32 v6, v4, v6
	v_subrev_nc_u32_e32 v8, s18, v6
	v_cmp_le_u32_e32 vcc_lo, s18, v6
	s_delay_alu instid0(VALU_DEP_2) | instskip(NEXT) | instid1(VALU_DEP_1)
	v_dual_cndmask_b32 v6, v6, v8 :: v_dual_cndmask_b32 v3, v3, v7
	v_cmp_le_u32_e32 vcc_lo, s18, v6
	s_delay_alu instid0(VALU_DEP_2) | instskip(NEXT) | instid1(VALU_DEP_1)
	v_add_nc_u32_e32 v7, 1, v3
	v_dual_cndmask_b32 v6, v3, v7 :: v_dual_mov_b32 v7, v2
.LBB16_12:                              ;   in Loop: Header=BB16_4 Depth=1
	s_or_b32 exec_lo, exec_lo, s1
	s_delay_alu instid0(VALU_DEP_1) | instskip(SKIP_1) | instid1(VALU_DEP_1)
	v_or_b32_e32 v3, s17, v7
                                        ; implicit-def: $vgpr8_vgpr9
	s_mov_b32 s1, exec_lo
	v_cmpx_ne_u64_e32 0, v[2:3]
	s_xor_b32 s37, exec_lo, s1
	s_cbranch_execz .LBB16_14
; %bb.13:                               ;   in Loop: Header=BB16_4 Depth=1
	s_ashr_i32 s40, s17, 31
	v_dual_mov_b32 v15, v2 :: v_dual_ashrrev_i32 v8, 31, v7
	s_mov_b32 s41, s40
	v_mov_b32_e32 v19, v2
	s_add_nc_u64 s[42:43], s[16:17], s[40:41]
	s_delay_alu instid0(VALU_DEP_2)
	v_mov_b32_e32 v9, v8
	s_xor_b64 s[42:43], s[42:43], s[40:41]
	v_mov_b32_e32 v23, v2
	s_cvt_f32_u32 s1, s42
	s_cvt_f32_u32 s2, s43
	s_sub_nc_u64 s[54:55], 0, s[42:43]
	v_add_nc_u64_e32 v[12:13], v[6:7], v[8:9]
	s_delay_alu instid0(SALU_CYCLE_1) | instskip(NEXT) | instid1(SALU_CYCLE_3)
	s_fmamk_f32 s1, s2, 0x4f800000, s1
	v_s_rcp_f32 s1, s1
	s_delay_alu instid0(VALU_DEP_1) | instskip(NEXT) | instid1(VALU_DEP_2)
	v_xor_b32_e32 v14, v12, v8
	v_xor_b32_e32 v18, v13, v8
	s_delay_alu instid0(TRANS32_DEP_1) | instskip(NEXT) | instid1(SALU_CYCLE_3)
	s_mul_f32 s1, s1, 0x5f7ffffc
	s_mul_f32 s2, s1, 0x2f800000
	s_delay_alu instid0(SALU_CYCLE_3) | instskip(NEXT) | instid1(SALU_CYCLE_3)
	s_trunc_f32 s2, s2
	s_fmamk_f32 s1, s2, 0xcf800000, s1
	s_cvt_u32_f32 s53, s2
	s_delay_alu instid0(SALU_CYCLE_2) | instskip(NEXT) | instid1(SALU_CYCLE_3)
	s_cvt_u32_f32 s52, s1
	s_mul_u64 s[56:57], s[54:55], s[52:53]
	s_delay_alu instid0(SALU_CYCLE_1)
	s_mul_hi_u32 s59, s52, s57
	s_mul_i32 s58, s52, s57
	s_mul_hi_u32 s2, s52, s56
	s_mul_i32 s41, s53, s56
	s_add_nc_u64 s[58:59], s[2:3], s[58:59]
	s_mul_hi_u32 s1, s53, s56
	s_mul_hi_u32 s60, s53, s57
	s_add_co_u32 s2, s58, s41
	s_add_co_ci_u32 s2, s59, s1
	s_mul_i32 s56, s53, s57
	s_add_co_ci_u32 s57, s60, 0
	s_delay_alu instid0(SALU_CYCLE_1) | instskip(NEXT) | instid1(SALU_CYCLE_1)
	s_add_nc_u64 s[56:57], s[2:3], s[56:57]
	s_add_co_u32 s52, s52, s56
	s_cselect_b32 s1, -1, 0
	s_delay_alu instid0(SALU_CYCLE_1) | instskip(SKIP_1) | instid1(SALU_CYCLE_1)
	s_cmp_lg_u32 s1, 0
	s_add_co_ci_u32 s53, s53, s57
	s_mul_u64 s[54:55], s[54:55], s[52:53]
	s_delay_alu instid0(SALU_CYCLE_1)
	s_mul_hi_u32 s57, s52, s55
	s_mul_i32 s56, s52, s55
	s_mul_hi_u32 s2, s52, s54
	s_mul_i32 s41, s53, s54
	s_add_nc_u64 s[56:57], s[2:3], s[56:57]
	s_mul_hi_u32 s1, s53, s54
	s_mul_hi_u32 s58, s53, s55
	s_add_co_u32 s2, s56, s41
	s_add_co_ci_u32 s2, s57, s1
	s_mul_i32 s54, s53, s55
	s_add_co_ci_u32 s55, s58, 0
	s_delay_alu instid0(SALU_CYCLE_1) | instskip(NEXT) | instid1(SALU_CYCLE_1)
	s_add_nc_u64 s[54:55], s[2:3], s[54:55]
	s_add_co_u32 s52, s52, s54
	s_cselect_b32 s1, -1, 0
	v_mul_hi_u32 v22, v14, s52
	s_cmp_lg_u32 s1, 0
	s_add_co_ci_u32 s2, s53, s55
	s_and_b64 s[54:55], s[52:53], s[34:35]
	v_mul_u64_e32 v[16:17], s[2:3], v[14:15]
	v_mul_u64_e32 v[12:13], s[54:55], v[18:19]
	;; [unrolled: 1-line block ×3, first 2 shown]
	s_delay_alu instid0(VALU_DEP_3) | instskip(NEXT) | instid1(VALU_DEP_1)
	v_add_nc_u64_e32 v[16:17], v[22:23], v[16:17]
	v_add_co_u32 v3, vcc_lo, v16, v12
	s_delay_alu instid0(VALU_DEP_2) | instskip(NEXT) | instid1(VALU_DEP_4)
	v_add_co_ci_u32_e32 v22, vcc_lo, v17, v13, vcc_lo
	v_add_co_ci_u32_e32 v21, vcc_lo, 0, v21, vcc_lo
	s_delay_alu instid0(VALU_DEP_1) | instskip(NEXT) | instid1(VALU_DEP_1)
	v_add_nc_u64_e32 v[12:13], v[22:23], v[20:21]
	v_mul_u64_e32 v[16:17], s[42:43], v[12:13]
	s_delay_alu instid0(VALU_DEP_1) | instskip(NEXT) | instid1(VALU_DEP_2)
	v_sub_nc_u32_e32 v3, v18, v17
	v_sub_co_u32 v7, vcc_lo, v14, v16
	s_delay_alu instid0(VALU_DEP_1) | instskip(NEXT) | instid1(VALU_DEP_3)
	v_sub_co_ci_u32_e64 v11, null, v18, v17, vcc_lo
	v_subrev_co_ci_u32_e64 v3, null, s43, v3, vcc_lo
	s_delay_alu instid0(VALU_DEP_3) | instskip(SKIP_1) | instid1(VALU_DEP_3)
	v_sub_co_u32 v9, s1, v7, s42
	v_add_nc_u64_e32 v[16:17], 1, v[12:13]
	v_subrev_co_ci_u32_e64 v3, null, 0, v3, s1
	s_delay_alu instid0(VALU_DEP_3) | instskip(SKIP_1) | instid1(VALU_DEP_3)
	v_cmp_le_u32_e32 vcc_lo, s42, v9
	v_cndmask_b32_e64 v9, 0, -1, vcc_lo
	v_cmp_le_u32_e32 vcc_lo, s43, v3
	v_cndmask_b32_e64 v14, 0, -1, vcc_lo
	;; [unrolled: 2-line block ×4, first 2 shown]
	v_cmp_eq_u32_e32 vcc_lo, s43, v3
	v_cndmask_b32_e32 v3, v14, v9, vcc_lo
	v_cmp_eq_u32_e32 vcc_lo, s43, v11
	v_add_nc_u64_e32 v[14:15], 2, v[12:13]
	v_cndmask_b32_e32 v7, v18, v7, vcc_lo
	s_delay_alu instid0(VALU_DEP_4) | instskip(NEXT) | instid1(VALU_DEP_2)
	v_cmp_ne_u32_e32 vcc_lo, 0, v3
	v_cmp_ne_u32_e64 s1, 0, v7
	s_delay_alu instid0(VALU_DEP_4) | instskip(NEXT) | instid1(VALU_DEP_1)
	v_dual_cndmask_b32 v3, v17, v15, vcc_lo :: v_dual_cndmask_b32 v7, v16, v14, vcc_lo
	v_dual_cndmask_b32 v3, v13, v3, s1 :: v_dual_bitop2_b32 v8, s40, v8 bitop3:0x14
	s_delay_alu instid0(VALU_DEP_1) | instskip(NEXT) | instid1(VALU_DEP_1)
	v_dual_cndmask_b32 v7, v12, v7, s1 :: v_dual_bitop2_b32 v13, v3, v8 bitop3:0x14
	v_dual_mov_b32 v9, v8 :: v_dual_bitop2_b32 v12, v7, v8 bitop3:0x14
	s_delay_alu instid0(VALU_DEP_1)
	v_sub_nc_u64_e32 v[8:9], v[12:13], v[8:9]
.LBB16_14:                              ;   in Loop: Header=BB16_4 Depth=1
	s_and_not1_saveexec_b32 s1, s37
	s_cbranch_execz .LBB16_16
; %bb.15:                               ;   in Loop: Header=BB16_4 Depth=1
	v_cvt_f32_u32_e32 v3, s16
	s_sub_co_i32 s2, 0, s16
	s_delay_alu instid0(VALU_DEP_1) | instskip(SKIP_1) | instid1(TRANS32_DEP_1)
	v_rcp_iflag_f32_e32 v3, v3
	v_nop
	v_mul_f32_e32 v3, 0x4f7ffffe, v3
	s_delay_alu instid0(VALU_DEP_1) | instskip(NEXT) | instid1(VALU_DEP_1)
	v_cvt_u32_f32_e32 v3, v3
	v_mul_lo_u32 v7, s2, v3
	s_delay_alu instid0(VALU_DEP_1) | instskip(NEXT) | instid1(VALU_DEP_1)
	v_mul_hi_u32 v7, v3, v7
	v_add_nc_u32_e32 v3, v3, v7
	s_delay_alu instid0(VALU_DEP_1) | instskip(NEXT) | instid1(VALU_DEP_1)
	v_mul_hi_u32 v3, v6, v3
	v_mul_lo_u32 v7, v3, s16
	s_delay_alu instid0(VALU_DEP_1) | instskip(NEXT) | instid1(VALU_DEP_1)
	v_sub_nc_u32_e32 v7, v6, v7
	v_subrev_nc_u32_e32 v9, s16, v7
	v_cmp_le_u32_e32 vcc_lo, s16, v7
	s_delay_alu instid0(VALU_DEP_2) | instskip(NEXT) | instid1(VALU_DEP_1)
	v_dual_cndmask_b32 v7, v7, v9 :: v_dual_add_nc_u32 v8, 1, v3
	v_dual_cndmask_b32 v3, v3, v8, vcc_lo :: v_dual_mov_b32 v9, v2
	s_delay_alu instid0(VALU_DEP_2) | instskip(NEXT) | instid1(VALU_DEP_2)
	v_cmp_le_u32_e32 vcc_lo, s16, v7
	v_add_nc_u32_e32 v8, 1, v3
	s_delay_alu instid0(VALU_DEP_1)
	v_cndmask_b32_e32 v8, v3, v8, vcc_lo
.LBB16_16:                              ;   in Loop: Header=BB16_4 Depth=1
	s_or_b32 exec_lo, exec_lo, s1
	s_delay_alu instid0(VALU_DEP_1) | instskip(SKIP_2) | instid1(VALU_DEP_2)
	v_mul_lo_u32 v3, v8, s16
	v_mov_b32_e32 v7, 0
	s_mov_b32 s1, exec_lo
	v_dual_mov_b32 v3, 0 :: v_dual_sub_nc_u32 v12, v6, v3
	s_delay_alu instid0(VALU_DEP_1)
	v_cmpx_le_i32_e64 s6, v12
	s_cbranch_execz .LBB16_18
; %bb.17:                               ;   in Loop: Header=BB16_4 Depth=1
	v_subrev_nc_u32_e32 v14, s6, v12
	v_mov_b32_e32 v15, v2
	s_delay_alu instid0(VALU_DEP_1) | instskip(NEXT) | instid1(VALU_DEP_1)
	v_mul_u64_e32 v[16:17], s[28:29], v[14:15]
	v_mul_lo_u32 v7, v17, s33
	s_delay_alu instid0(VALU_DEP_1) | instskip(NEXT) | instid1(VALU_DEP_1)
	v_dual_add_nc_u32 v11, 1, v17 :: v_dual_sub_nc_u32 v7, v14, v7
	v_subrev_nc_u32_e32 v13, s33, v7
	v_cmp_le_u32_e32 vcc_lo, s33, v7
	s_delay_alu instid0(VALU_DEP_2) | instskip(NEXT) | instid1(VALU_DEP_1)
	v_dual_cndmask_b32 v11, v17, v11, vcc_lo :: v_dual_cndmask_b32 v7, v7, v13, vcc_lo
	v_add_nc_u32_e32 v13, 1, v11
	s_delay_alu instid0(VALU_DEP_2) | instskip(NEXT) | instid1(VALU_DEP_2)
	v_cmp_le_u32_e32 vcc_lo, s33, v7
	v_cndmask_b32_e32 v7, v11, v13, vcc_lo
	s_delay_alu instid0(VALU_DEP_1) | instskip(NEXT) | instid1(VALU_DEP_1)
	v_xor_b32_e32 v7, s47, v7
	v_subrev_nc_u32_e32 v7, s47, v7
	s_delay_alu instid0(VALU_DEP_1)
	v_add_nc_u32_e32 v7, 1, v7
.LBB16_18:                              ;   in Loop: Header=BB16_4 Depth=1
	s_or_b32 exec_lo, exec_lo, s1
	v_mul_lo_u32 v6, v6, s18
	s_mov_b32 s1, exec_lo
	s_delay_alu instid0(VALU_DEP_1) | instskip(NEXT) | instid1(VALU_DEP_1)
	v_sub_nc_u32_e32 v11, v4, v6
	v_cmpx_le_i32_e64 s7, v11
	s_cbranch_execz .LBB16_20
; %bb.19:                               ;   in Loop: Header=BB16_4 Depth=1
	v_subrev_nc_u32_e32 v14, s7, v11
	v_mov_b32_e32 v15, v2
	s_delay_alu instid0(VALU_DEP_1) | instskip(NEXT) | instid1(VALU_DEP_1)
	v_mul_u64_e32 v[16:17], s[30:31], v[14:15]
	v_mul_lo_u32 v3, v17, s44
	s_delay_alu instid0(VALU_DEP_1) | instskip(NEXT) | instid1(VALU_DEP_1)
	v_dual_add_nc_u32 v6, 1, v17 :: v_dual_sub_nc_u32 v3, v14, v3
	v_cmp_le_u32_e32 vcc_lo, s44, v3
	s_delay_alu instid0(VALU_DEP_2) | instskip(SKIP_1) | instid1(VALU_DEP_1)
	v_cndmask_b32_e32 v6, v17, v6, vcc_lo
	v_subrev_nc_u32_e32 v13, s44, v3
	v_dual_cndmask_b32 v3, v3, v13, vcc_lo :: v_dual_add_nc_u32 v13, 1, v6
	s_delay_alu instid0(VALU_DEP_1) | instskip(NEXT) | instid1(VALU_DEP_2)
	v_cmp_le_u32_e32 vcc_lo, s44, v3
	v_cndmask_b32_e32 v3, v6, v13, vcc_lo
	s_delay_alu instid0(VALU_DEP_1) | instskip(NEXT) | instid1(VALU_DEP_1)
	v_xor_b32_e32 v3, s48, v3
	v_subrev_nc_u32_e32 v3, s48, v3
	s_delay_alu instid0(VALU_DEP_1)
	v_add_nc_u32_e32 v3, 1, v3
.LBB16_20:                              ;   in Loop: Header=BB16_4 Depth=1
	s_or_b32 exec_lo, exec_lo, s1
	v_dual_mov_b32 v15, v2 :: v_dual_sub_nc_u32 v6, 0, v12
	s_mov_b32 s37, exec_lo
	s_delay_alu instid0(VALU_DEP_1) | instskip(NEXT) | instid1(VALU_DEP_1)
	v_max_i32_e32 v14, v12, v6
	v_mul_u64_e32 v[16:17], s[28:29], v[14:15]
	s_delay_alu instid0(VALU_DEP_1) | instskip(NEXT) | instid1(VALU_DEP_1)
	v_mul_lo_u32 v6, v17, s33
	v_dual_add_nc_u32 v13, 1, v17 :: v_dual_sub_nc_u32 v6, v14, v6
	s_delay_alu instid0(VALU_DEP_1) | instskip(NEXT) | instid1(VALU_DEP_2)
	v_cmp_le_u32_e32 vcc_lo, s33, v6
	v_cndmask_b32_e32 v13, v17, v13, vcc_lo
	v_subrev_nc_u32_e32 v14, s33, v6
	s_delay_alu instid0(VALU_DEP_1) | instskip(NEXT) | instid1(VALU_DEP_1)
	v_dual_ashrrev_i32 v12, 31, v12 :: v_dual_cndmask_b32 v6, v6, v14, vcc_lo
	v_dual_add_nc_u32 v14, 1, v13 :: v_dual_bitop2_b32 v12, s47, v12 bitop3:0x14
	s_delay_alu instid0(VALU_DEP_2) | instskip(NEXT) | instid1(VALU_DEP_2)
	v_cmp_le_u32_e32 vcc_lo, s33, v6
	v_cndmask_b32_e32 v6, v13, v14, vcc_lo
	s_delay_alu instid0(VALU_DEP_1) | instskip(NEXT) | instid1(VALU_DEP_1)
	v_xor_b32_e32 v6, v6, v12
	v_dual_sub_nc_u32 v6, v6, v12 :: v_dual_mov_b32 v12, 0
	s_delay_alu instid0(VALU_DEP_1) | instskip(NEXT) | instid1(VALU_DEP_1)
	v_add_min_i32_e64 v6, v6, 1, s4
	v_cmpx_lt_i32_e64 v7, v6
	s_cbranch_execz .LBB16_3
; %bb.21:                               ;   in Loop: Header=BB16_4 Depth=1
	v_dual_mov_b32 v13, v2 :: v_dual_sub_nc_u32 v12, 0, v11
	v_mul_u64_e32 v[4:5], s[14:15], v[4:5]
	v_mul_u64_e32 v[16:17], s[38:39], v[8:9]
	s_mov_b32 s40, 0
	s_delay_alu instid0(VALU_DEP_3) | instskip(NEXT) | instid1(VALU_DEP_1)
	v_dual_ashrrev_i32 v11, 31, v11 :: v_dual_max_i32 v12, v11, v12
	v_mul_u64_e32 v[14:15], s[30:31], v[12:13]
	s_delay_alu instid0(VALU_DEP_2) | instskip(SKIP_1) | instid1(VALU_DEP_3)
	v_xor_b32_e32 v11, s48, v11
	v_sub_nc_u64_e32 v[4:5], v[0:1], v[4:5]
	v_mul_lo_u32 v13, v15, s44
	s_delay_alu instid0(VALU_DEP_1) | instskip(SKIP_1) | instid1(VALU_DEP_2)
	v_dual_add_nc_u32 v9, 1, v15 :: v_dual_sub_nc_u32 v8, v12, v13
	v_mul_lo_u32 v13, s9, v3
	v_subrev_nc_u32_e32 v12, s44, v8
	v_cmp_le_u32_e32 vcc_lo, s44, v8
	s_delay_alu instid0(VALU_DEP_2) | instskip(SKIP_1) | instid1(VALU_DEP_2)
	v_dual_cndmask_b32 v9, v15, v9 :: v_dual_cndmask_b32 v8, v8, v12
	v_lshl_add_u64 v[14:15], v[16:17], 1, s[12:13]
	v_add_nc_u32_e32 v12, 1, v9
	s_delay_alu instid0(VALU_DEP_3) | instskip(NEXT) | instid1(VALU_DEP_3)
	v_cmp_le_u32_e32 vcc_lo, s44, v8
	v_lshl_add_u64 v[4:5], v[4:5], 1, v[14:15]
	s_delay_alu instid0(VALU_DEP_3) | instskip(NEXT) | instid1(VALU_DEP_1)
	v_dual_mov_b32 v14, 0 :: v_dual_cndmask_b32 v8, v9, v12, vcc_lo
	v_dual_add_nc_u32 v12, s50, v13 :: v_dual_bitop2_b32 v8, v8, v11 bitop3:0x14
	s_delay_alu instid0(VALU_DEP_1) | instskip(SKIP_2) | instid1(VALU_DEP_3)
	v_sub_nc_u32_e32 v9, v8, v11
	v_mul_lo_u32 v8, s5, v7
	v_dual_add_nc_u32 v11, s49, v13 :: v_dual_sub_nc_u32 v13, s11, v13
	v_add_min_i32_e64 v9, v9, 1, s5
	s_delay_alu instid0(VALU_DEP_1)
	v_cmp_lt_i32_e32 vcc_lo, v3, v9
	s_branch .LBB16_24
.LBB16_22:                              ;   in Loop: Header=BB16_24 Depth=2
	s_or_b32 exec_lo, exec_lo, s42
.LBB16_23:                              ;   in Loop: Header=BB16_24 Depth=2
	s_delay_alu instid0(SALU_CYCLE_1) | instskip(NEXT) | instid1(VALU_DEP_4)
	s_or_b32 exec_lo, exec_lo, s41
	v_dual_add_nc_u32 v7, 1, v7 :: v_dual_add_nc_u32 v8, s5, v8
	s_delay_alu instid0(VALU_DEP_1) | instskip(SKIP_1) | instid1(SALU_CYCLE_1)
	v_cmp_ge_i32_e64 s1, v7, v6
	s_or_b32 s40, s1, s40
	s_and_not1_b32 exec_lo, exec_lo, s40
	s_cbranch_execz .LBB16_2
.LBB16_24:                              ;   Parent Loop BB16_4 Depth=1
                                        ; =>  This Loop Header: Depth=2
                                        ;       Child Loop BB16_27 Depth 3
	s_and_saveexec_b32 s41, vcc_lo
	s_cbranch_execz .LBB16_23
; %bb.25:                               ;   in Loop: Header=BB16_24 Depth=2
	v_mul_lo_u32 v15, v7, s8
	s_mov_b32 s42, 0
	v_mov_b32_e32 v16, v12
	s_delay_alu instid0(VALU_DEP_2) | instskip(NEXT) | instid1(VALU_DEP_1)
	v_subrev_nc_u32_e32 v18, s10, v15
	v_dual_mov_b32 v15, v13 :: v_dual_max_i32 v20, 0, v18
	v_add_min_i32_e64 v19, v18, s6, s45
	s_delay_alu instid0(VALU_DEP_1) | instskip(SKIP_1) | instid1(VALU_DEP_2)
	v_dual_mov_b32 v17, v11 :: v_dual_min_i32 v21, s16, v19
	v_sub_nc_u32_e32 v18, v19, v18
	v_cmp_gt_i32_e64 s1, v21, v20
	v_dual_mov_b32 v20, v3 :: v_dual_sub_nc_u32 v19, v21, v20
	s_branch .LBB16_27
.LBB16_26:                              ;   in Loop: Header=BB16_27 Depth=3
	s_or_b32 exec_lo, exec_lo, s2
	v_dual_add_nc_u32 v20, 1, v20 :: v_dual_add_nc_u32 v17, s9, v17
	v_add_nc_u32_e32 v16, s9, v16
	v_subrev_nc_u32_e32 v15, s9, v15
	s_delay_alu instid0(VALU_DEP_3) | instskip(SKIP_1) | instid1(SALU_CYCLE_1)
	v_cmp_ge_i32_e64 s2, v20, v9
	s_or_b32 s42, s2, s42
	s_and_not1_b32 exec_lo, exec_lo, s42
	s_cbranch_execz .LBB16_22
.LBB16_27:                              ;   Parent Loop BB16_4 Depth=1
                                        ;     Parent Loop BB16_24 Depth=2
                                        ; =>    This Inner Loop Header: Depth=3
	v_dual_add_nc_u32 v22, s7, v17 :: v_dual_max_i32 v21, 0, v17
	s_delay_alu instid0(VALU_DEP_1) | instskip(NEXT) | instid1(VALU_DEP_1)
	v_min3_i32 v22, v22, s46, s18
	v_cmp_gt_i32_e64 s2, v22, v21
	s_and_b32 s43, s1, s2
	s_delay_alu instid0(SALU_CYCLE_1)
	s_and_saveexec_b32 s2, s43
	s_cbranch_execz .LBB16_26
; %bb.28:                               ;   in Loop: Header=BB16_27 Depth=3
	v_dual_add_nc_u32 v24, v8, v20 :: v_dual_sub_nc_u32 v21, v22, v21
	s_delay_alu instid0(VALU_DEP_1) | instskip(NEXT) | instid1(VALU_DEP_2)
	v_ashrrev_i32_e32 v25, 31, v24
	v_mul_lo_u32 v21, v21, v19
	s_delay_alu instid0(VALU_DEP_2) | instskip(NEXT) | instid1(VALU_DEP_1)
	v_mul_u64_e32 v[24:25], s[14:15], v[24:25]
	v_lshl_add_u64 v[24:25], v[24:25], 1, v[4:5]
	global_load_u16 v23, v[24:25], off
	s_wait_xcnt 0x0
	v_min_i32_e32 v24, s46, v16
	s_delay_alu instid0(VALU_DEP_1) | instskip(NEXT) | instid1(VALU_DEP_1)
	v_add_nc_u32_e32 v24, v24, v15
	v_mul_lo_u32 v22, v24, v18
	s_delay_alu instid0(VALU_DEP_1) | instskip(NEXT) | instid1(VALU_DEP_1)
	v_cndmask_b32_e64 v21, v21, v22, s0
	v_cndmask_b32_e64 v21, v21, s22, s23
	s_delay_alu instid0(VALU_DEP_1) | instskip(NEXT) | instid1(VALU_DEP_1)
	v_cvt_f32_i32_e32 v21, v21
	v_cvt_f16_f32_e32 v21, v21
	s_delay_alu instid0(VALU_DEP_1) | instskip(NEXT) | instid1(VALU_DEP_1)
	v_cvt_f32_f16_e32 v22, v21
	v_rcp_f32_e32 v22, v22
	s_wait_loadcnt 0x0
	v_cvt_f32_f16_e32 v24, v23
	s_delay_alu instid0(TRANS32_DEP_1) | instid1(VALU_DEP_1)
	v_mul_f32_e32 v24, v24, v22
	s_delay_alu instid0(VALU_DEP_1) | instskip(NEXT) | instid1(VALU_DEP_1)
	v_fma_mix_f32 v25, -v21, v24, v23 op_sel_hi:[1,0,1]
	v_fmac_f32_e32 v24, v25, v22
	s_delay_alu instid0(VALU_DEP_1) | instskip(NEXT) | instid1(VALU_DEP_1)
	v_fma_mix_f32 v25, -v21, v24, v23 op_sel_hi:[1,0,1]
	v_mul_f32_e32 v22, v25, v22
	s_delay_alu instid0(VALU_DEP_1) | instskip(NEXT) | instid1(VALU_DEP_1)
	v_and_b32_e32 v22, 0xff800000, v22
	v_add_f32_e32 v22, v22, v24
	s_delay_alu instid0(VALU_DEP_1) | instskip(NEXT) | instid1(VALU_DEP_1)
	v_cvt_f16_f32_e32 v22, v22
	v_div_fixup_f16 v21, v22, v21, v23
	s_delay_alu instid0(VALU_DEP_1) | instskip(NEXT) | instid1(VALU_DEP_1)
	v_cvt_f32_f16_e32 v21, v21
	v_add_f32_e32 v14, v14, v21
	s_branch .LBB16_26
.LBB16_29:
	s_endpgm
	.section	.rodata,"a",@progbits
	.p2align	6, 0x0
	.amdhsa_kernel _ZN2at6native12_GLOBAL__N_139avg_pool2d_backward_out_cuda_frame_nhwcIN3c104HalfEfiEEvT1_PKT_llliiiiiiiiPS6_ibb
		.amdhsa_group_segment_fixed_size 0
		.amdhsa_private_segment_fixed_size 0
		.amdhsa_kernarg_size 344
		.amdhsa_user_sgpr_count 2
		.amdhsa_user_sgpr_dispatch_ptr 0
		.amdhsa_user_sgpr_queue_ptr 0
		.amdhsa_user_sgpr_kernarg_segment_ptr 1
		.amdhsa_user_sgpr_dispatch_id 0
		.amdhsa_user_sgpr_kernarg_preload_length 0
		.amdhsa_user_sgpr_kernarg_preload_offset 0
		.amdhsa_user_sgpr_private_segment_size 0
		.amdhsa_wavefront_size32 1
		.amdhsa_uses_dynamic_stack 0
		.amdhsa_enable_private_segment 0
		.amdhsa_system_sgpr_workgroup_id_x 1
		.amdhsa_system_sgpr_workgroup_id_y 0
		.amdhsa_system_sgpr_workgroup_id_z 0
		.amdhsa_system_sgpr_workgroup_info 0
		.amdhsa_system_vgpr_workitem_id 0
		.amdhsa_next_free_vgpr 26
		.amdhsa_next_free_sgpr 61
		.amdhsa_named_barrier_count 0
		.amdhsa_reserve_vcc 1
		.amdhsa_float_round_mode_32 0
		.amdhsa_float_round_mode_16_64 0
		.amdhsa_float_denorm_mode_32 3
		.amdhsa_float_denorm_mode_16_64 3
		.amdhsa_fp16_overflow 0
		.amdhsa_memory_ordered 1
		.amdhsa_forward_progress 1
		.amdhsa_inst_pref_size 30
		.amdhsa_round_robin_scheduling 0
		.amdhsa_exception_fp_ieee_invalid_op 0
		.amdhsa_exception_fp_denorm_src 0
		.amdhsa_exception_fp_ieee_div_zero 0
		.amdhsa_exception_fp_ieee_overflow 0
		.amdhsa_exception_fp_ieee_underflow 0
		.amdhsa_exception_fp_ieee_inexact 0
		.amdhsa_exception_int_div_zero 0
	.end_amdhsa_kernel
	.section	.text._ZN2at6native12_GLOBAL__N_139avg_pool2d_backward_out_cuda_frame_nhwcIN3c104HalfEfiEEvT1_PKT_llliiiiiiiiPS6_ibb,"axG",@progbits,_ZN2at6native12_GLOBAL__N_139avg_pool2d_backward_out_cuda_frame_nhwcIN3c104HalfEfiEEvT1_PKT_llliiiiiiiiPS6_ibb,comdat
.Lfunc_end16:
	.size	_ZN2at6native12_GLOBAL__N_139avg_pool2d_backward_out_cuda_frame_nhwcIN3c104HalfEfiEEvT1_PKT_llliiiiiiiiPS6_ibb, .Lfunc_end16-_ZN2at6native12_GLOBAL__N_139avg_pool2d_backward_out_cuda_frame_nhwcIN3c104HalfEfiEEvT1_PKT_llliiiiiiiiPS6_ibb
                                        ; -- End function
	.set _ZN2at6native12_GLOBAL__N_139avg_pool2d_backward_out_cuda_frame_nhwcIN3c104HalfEfiEEvT1_PKT_llliiiiiiiiPS6_ibb.num_vgpr, 26
	.set _ZN2at6native12_GLOBAL__N_139avg_pool2d_backward_out_cuda_frame_nhwcIN3c104HalfEfiEEvT1_PKT_llliiiiiiiiPS6_ibb.num_agpr, 0
	.set _ZN2at6native12_GLOBAL__N_139avg_pool2d_backward_out_cuda_frame_nhwcIN3c104HalfEfiEEvT1_PKT_llliiiiiiiiPS6_ibb.numbered_sgpr, 61
	.set _ZN2at6native12_GLOBAL__N_139avg_pool2d_backward_out_cuda_frame_nhwcIN3c104HalfEfiEEvT1_PKT_llliiiiiiiiPS6_ibb.num_named_barrier, 0
	.set _ZN2at6native12_GLOBAL__N_139avg_pool2d_backward_out_cuda_frame_nhwcIN3c104HalfEfiEEvT1_PKT_llliiiiiiiiPS6_ibb.private_seg_size, 0
	.set _ZN2at6native12_GLOBAL__N_139avg_pool2d_backward_out_cuda_frame_nhwcIN3c104HalfEfiEEvT1_PKT_llliiiiiiiiPS6_ibb.uses_vcc, 1
	.set _ZN2at6native12_GLOBAL__N_139avg_pool2d_backward_out_cuda_frame_nhwcIN3c104HalfEfiEEvT1_PKT_llliiiiiiiiPS6_ibb.uses_flat_scratch, 0
	.set _ZN2at6native12_GLOBAL__N_139avg_pool2d_backward_out_cuda_frame_nhwcIN3c104HalfEfiEEvT1_PKT_llliiiiiiiiPS6_ibb.has_dyn_sized_stack, 0
	.set _ZN2at6native12_GLOBAL__N_139avg_pool2d_backward_out_cuda_frame_nhwcIN3c104HalfEfiEEvT1_PKT_llliiiiiiiiPS6_ibb.has_recursion, 0
	.set _ZN2at6native12_GLOBAL__N_139avg_pool2d_backward_out_cuda_frame_nhwcIN3c104HalfEfiEEvT1_PKT_llliiiiiiiiPS6_ibb.has_indirect_call, 0
	.section	.AMDGPU.csdata,"",@progbits
; Kernel info:
; codeLenInByte = 3716
; TotalNumSgprs: 63
; NumVgprs: 26
; ScratchSize: 0
; MemoryBound: 0
; FloatMode: 240
; IeeeMode: 1
; LDSByteSize: 0 bytes/workgroup (compile time only)
; SGPRBlocks: 0
; VGPRBlocks: 1
; NumSGPRsForWavesPerEU: 63
; NumVGPRsForWavesPerEU: 26
; NamedBarCnt: 0
; Occupancy: 16
; WaveLimiterHint : 0
; COMPUTE_PGM_RSRC2:SCRATCH_EN: 0
; COMPUTE_PGM_RSRC2:USER_SGPR: 2
; COMPUTE_PGM_RSRC2:TRAP_HANDLER: 0
; COMPUTE_PGM_RSRC2:TGID_X_EN: 1
; COMPUTE_PGM_RSRC2:TGID_Y_EN: 0
; COMPUTE_PGM_RSRC2:TGID_Z_EN: 0
; COMPUTE_PGM_RSRC2:TIDIG_COMP_CNT: 0
	.section	.text._ZN2at6native12_GLOBAL__N_134avg_pool2d_backward_out_cuda_frameIN3c104HalfEfiEEvT1_PKT_llllliiiiiiPS6_ibb,"axG",@progbits,_ZN2at6native12_GLOBAL__N_134avg_pool2d_backward_out_cuda_frameIN3c104HalfEfiEEvT1_PKT_llllliiiiiiPS6_ibb,comdat
	.globl	_ZN2at6native12_GLOBAL__N_134avg_pool2d_backward_out_cuda_frameIN3c104HalfEfiEEvT1_PKT_llllliiiiiiPS6_ibb ; -- Begin function _ZN2at6native12_GLOBAL__N_134avg_pool2d_backward_out_cuda_frameIN3c104HalfEfiEEvT1_PKT_llllliiiiiiPS6_ibb
	.p2align	8
	.type	_ZN2at6native12_GLOBAL__N_134avg_pool2d_backward_out_cuda_frameIN3c104HalfEfiEEvT1_PKT_llllliiiiiiPS6_ibb,@function
_ZN2at6native12_GLOBAL__N_134avg_pool2d_backward_out_cuda_frameIN3c104HalfEfiEEvT1_PKT_llllliiiiiiPS6_ibb: ; @_ZN2at6native12_GLOBAL__N_134avg_pool2d_backward_out_cuda_frameIN3c104HalfEfiEEvT1_PKT_llllliiiiiiPS6_ibb
; %bb.0:
	s_clause 0x1
	s_load_b32 s20, s[0:1], 0x0
	s_load_b32 s2, s[0:1], 0x6c
	s_bfe_u32 s3, ttmp6, 0x4000c
	v_mov_b32_e32 v2, 0
	s_add_co_i32 s3, s3, 1
	s_and_b32 s4, ttmp6, 15
	s_mul_i32 s3, ttmp9, s3
	s_getreg_b32 s5, hwreg(HW_REG_IB_STS2, 6, 4)
	v_mov_b32_e32 v1, v2
	s_add_co_i32 s4, s4, s3
	s_mov_b32 s23, 0
	s_wait_kmcnt 0x0
	s_ashr_i32 s21, s20, 31
	s_and_b32 s22, s2, 0xffff
	s_cmp_eq_u32 s5, 0
	s_cselect_b32 s2, ttmp9, s4
	s_delay_alu instid0(SALU_CYCLE_1) | instskip(SKIP_1) | instid1(VALU_DEP_1)
	v_mad_nc_u64_u32 v[0:1], s22, s2, v[0:1]
	s_mov_b32 s2, exec_lo
	v_cmpx_gt_i64_e64 s[20:21], v[0:1]
	s_cbranch_execz .LBB17_25
; %bb.1:
	s_clause 0x3
	s_load_b64 s[24:25], s[0:1], 0x58
	s_load_b256 s[4:11], s[0:1], 0x18
	s_load_b32 s26, s[0:1], 0x5c
	s_load_b256 s[12:19], s[0:1], 0x38
	s_add_nc_u64 s[2:3], s[0:1], 0x60
	s_mov_b32 s31, s23
	s_load_b32 s28, s[2:3], 0x0
	s_mov_b32 s35, s23
	s_mov_b64 s[40:41], 0xffffffff
	s_mov_b32 s53, 0
	s_wait_kmcnt 0x0
	s_bitcmp1_b32 s25, 0
	v_cvt_f32_u32_e32 v3, s6
	s_cselect_b32 s2, -1, 0
	s_bitcmp1_b32 s26, 8
	s_cselect_b32 s3, -1, 0
	s_delay_alu instid0(VALU_DEP_1)
	v_rcp_iflag_f32_e32 v3, v3
	s_abs_i32 s25, s14
	s_abs_i32 s33, s15
	s_cvt_f32_u32 s26, s25
	s_cvt_f32_u32 s29, s33
	s_mul_i32 s28, s28, s22
	s_sub_co_i32 s22, 0, s6
	v_nop
	v_mul_f32_e32 v3, 0x4f7ffffe, v3
	v_rcp_iflag_f32_e32 v4, s26
	s_load_b64 s[26:27], s[0:1], 0x8
	v_rcp_iflag_f32_e32 v5, s29
	s_sub_co_i32 s30, 0, s33
	v_cvt_u32_f32_e32 v3, v3
	s_mov_b32 s29, s23
	s_add_co_i32 s48, s16, s4
	s_wait_xcnt 0x0
	v_readfirstlane_b32 s0, v4
	s_add_co_i32 s49, s17, s6
	v_mul_lo_u32 v4, s22, v3
	v_readfirstlane_b32 s1, v5
	s_sub_co_i32 s22, 0, s25
	s_mul_f32 s0, s0, 0x4f7ffffe
	s_ashr_i32 s50, s14, 31
	s_ashr_i32 s51, s15, 31
	s_mul_f32 s1, s1, 0x4f7ffffe
	s_cvt_u32_f32 s0, s0
	s_lshl_b64 s[36:37], s[8:9], 1
	s_lshl_b64 s[38:39], s[10:11], 1
	s_cvt_u32_f32 s1, s1
	v_mul_hi_u32 v4, v3, v4
	s_mul_i32 s22, s22, s0
	s_sub_co_i32 s9, 0, s17
	s_mul_i32 s34, s30, s1
	s_mul_hi_u32 s22, s0, s22
	s_sub_co_i32 s52, s13, s17
	s_add_co_i32 s30, s0, s22
	s_mul_hi_u32 s0, s1, s34
	s_ashr_i32 s42, s7, 31
	s_add_co_i32 s34, s1, s0
	s_ashr_i32 s44, s5, 31
	v_add_nc_u32_e32 v12, v3, v4
	s_branch .LBB17_4
.LBB17_2:                               ;   in Loop: Header=BB17_4 Depth=1
	s_or_b32 exec_lo, exec_lo, s43
	v_cvt_f16_f32_e32 v5, v15
.LBB17_3:                               ;   in Loop: Header=BB17_4 Depth=1
	s_or_b32 exec_lo, exec_lo, s22
	v_lshl_add_u64 v[6:7], v[0:1], 1, s[18:19]
	v_add_nc_u64_e32 v[0:1], s[28:29], v[0:1]
	global_store_b16 v[6:7], v5, off
	v_cmp_le_i64_e32 vcc_lo, s[20:21], v[0:1]
	s_or_b32 s53, vcc_lo, s53
	s_wait_xcnt 0x0
	s_and_not1_b32 exec_lo, exec_lo, s53
	s_cbranch_execz .LBB17_25
.LBB17_4:                               ; =>This Loop Header: Depth=1
                                        ;     Child Loop BB17_20 Depth 2
                                        ;       Child Loop BB17_23 Depth 3
	v_or_b32_e32 v3, s7, v1
                                        ; implicit-def: $vgpr4_vgpr5
	s_mov_b32 s0, exec_lo
	s_delay_alu instid0(VALU_DEP_1)
	v_cmpx_ne_u64_e32 0, v[2:3]
	s_xor_b32 s1, exec_lo, s0
	s_cbranch_execz .LBB17_6
; %bb.5:                                ;   in Loop: Header=BB17_4 Depth=1
	s_mov_b32 s43, s42
	v_dual_mov_b32 v9, v2 :: v_dual_ashrrev_i32 v4, 31, v1
	s_add_nc_u64 s[46:47], s[6:7], s[42:43]
	v_mov_b32_e32 v19, v2
	s_xor_b64 s[46:47], s[46:47], s[42:43]
	s_delay_alu instid0(VALU_DEP_2) | instskip(SKIP_3) | instid1(VALU_DEP_1)
	v_mov_b32_e32 v5, v4
	s_cvt_f32_u32 s0, s46
	s_cvt_f32_u32 s22, s47
	s_sub_nc_u64 s[56:57], 0, s[46:47]
	v_add_nc_u64_e32 v[6:7], v[0:1], v[4:5]
	s_delay_alu instid0(SALU_CYCLE_1) | instskip(SKIP_1) | instid1(SALU_CYCLE_2)
	s_fmamk_f32 s0, s22, 0x4f800000, s0
	v_mov_b32_e32 v15, v2
	v_s_rcp_f32 s0, s0
	s_delay_alu instid0(VALU_DEP_2) | instskip(NEXT) | instid1(VALU_DEP_3)
	v_xor_b32_e32 v8, v6, v4
	v_xor_b32_e32 v14, v7, v4
	s_delay_alu instid0(TRANS32_DEP_1) | instskip(NEXT) | instid1(SALU_CYCLE_3)
	s_mul_f32 s0, s0, 0x5f7ffffc
	s_mul_f32 s22, s0, 0x2f800000
	s_delay_alu instid0(SALU_CYCLE_3) | instskip(NEXT) | instid1(SALU_CYCLE_3)
	s_trunc_f32 s22, s22
	s_fmamk_f32 s0, s22, 0xcf800000, s0
	s_cvt_u32_f32 s55, s22
	s_delay_alu instid0(SALU_CYCLE_2) | instskip(NEXT) | instid1(SALU_CYCLE_3)
	s_cvt_u32_f32 s54, s0
	s_mul_u64 s[58:59], s[56:57], s[54:55]
	s_delay_alu instid0(SALU_CYCLE_1)
	s_mul_hi_u32 s61, s54, s59
	s_mul_i32 s60, s54, s59
	s_mul_hi_u32 s22, s54, s58
	s_mul_i32 s43, s55, s58
	s_add_nc_u64 s[60:61], s[22:23], s[60:61]
	s_mul_hi_u32 s0, s55, s58
	s_mul_hi_u32 s45, s55, s59
	s_add_co_u32 s22, s60, s43
	s_add_co_ci_u32 s22, s61, s0
	s_mul_i32 s58, s55, s59
	s_add_co_ci_u32 s59, s45, 0
	s_delay_alu instid0(SALU_CYCLE_1) | instskip(NEXT) | instid1(SALU_CYCLE_1)
	s_add_nc_u64 s[58:59], s[22:23], s[58:59]
	s_add_co_u32 s54, s54, s58
	s_cselect_b32 s0, -1, 0
	s_delay_alu instid0(SALU_CYCLE_1) | instskip(SKIP_1) | instid1(SALU_CYCLE_1)
	s_cmp_lg_u32 s0, 0
	s_add_co_ci_u32 s55, s55, s59
	s_mul_u64 s[56:57], s[56:57], s[54:55]
	s_delay_alu instid0(SALU_CYCLE_1)
	s_mul_hi_u32 s59, s54, s57
	s_mul_i32 s58, s54, s57
	s_mul_hi_u32 s22, s54, s56
	s_mul_i32 s43, s55, s56
	s_add_nc_u64 s[58:59], s[22:23], s[58:59]
	s_mul_hi_u32 s0, s55, s56
	s_mul_hi_u32 s45, s55, s57
	s_add_co_u32 s22, s58, s43
	s_add_co_ci_u32 s22, s59, s0
	s_mul_i32 s56, s55, s57
	s_add_co_ci_u32 s57, s45, 0
	s_delay_alu instid0(SALU_CYCLE_1) | instskip(NEXT) | instid1(SALU_CYCLE_1)
	s_add_nc_u64 s[56:57], s[22:23], s[56:57]
	s_add_co_u32 s0, s54, s56
	s_cselect_b32 s22, -1, 0
	v_mul_hi_u32 v18, v8, s0
	s_cmp_lg_u32 s22, 0
	s_add_co_ci_u32 s22, s55, s57
	s_and_b64 s[54:55], s[0:1], s[40:41]
	v_mul_u64_e32 v[10:11], s[22:23], v[8:9]
	v_mul_u64_e32 v[6:7], s[54:55], v[14:15]
	;; [unrolled: 1-line block ×3, first 2 shown]
	s_delay_alu instid0(VALU_DEP_3) | instskip(NEXT) | instid1(VALU_DEP_1)
	v_add_nc_u64_e32 v[10:11], v[18:19], v[10:11]
	v_add_co_u32 v3, vcc_lo, v10, v6
	s_delay_alu instid0(VALU_DEP_2) | instskip(NEXT) | instid1(VALU_DEP_4)
	v_add_co_ci_u32_e32 v18, vcc_lo, v11, v7, vcc_lo
	v_add_co_ci_u32_e32 v17, vcc_lo, 0, v17, vcc_lo
	s_delay_alu instid0(VALU_DEP_1) | instskip(NEXT) | instid1(VALU_DEP_1)
	v_add_nc_u64_e32 v[6:7], v[18:19], v[16:17]
	v_mul_u64_e32 v[10:11], s[46:47], v[6:7]
	s_delay_alu instid0(VALU_DEP_1) | instskip(NEXT) | instid1(VALU_DEP_2)
	v_sub_nc_u32_e32 v3, v14, v11
	v_sub_co_u32 v5, vcc_lo, v8, v10
	s_delay_alu instid0(VALU_DEP_1) | instskip(NEXT) | instid1(VALU_DEP_3)
	v_sub_co_ci_u32_e64 v13, null, v14, v11, vcc_lo
	v_subrev_co_ci_u32_e64 v3, null, s47, v3, vcc_lo
	s_delay_alu instid0(VALU_DEP_3) | instskip(SKIP_1) | instid1(VALU_DEP_3)
	v_sub_co_u32 v8, s0, v5, s46
	v_add_nc_u64_e32 v[10:11], 1, v[6:7]
	v_subrev_co_ci_u32_e64 v3, null, 0, v3, s0
	s_delay_alu instid0(VALU_DEP_3) | instskip(SKIP_1) | instid1(VALU_DEP_3)
	v_cmp_le_u32_e32 vcc_lo, s46, v8
	v_cndmask_b32_e64 v8, 0, -1, vcc_lo
	v_cmp_le_u32_e32 vcc_lo, s47, v3
	v_cndmask_b32_e64 v9, 0, -1, vcc_lo
	;; [unrolled: 2-line block ×4, first 2 shown]
	v_cmp_eq_u32_e32 vcc_lo, s47, v3
	v_cndmask_b32_e32 v3, v9, v8, vcc_lo
	v_cmp_eq_u32_e32 vcc_lo, s47, v13
	v_add_nc_u64_e32 v[8:9], 2, v[6:7]
	v_cndmask_b32_e32 v5, v14, v5, vcc_lo
	s_delay_alu instid0(VALU_DEP_4) | instskip(NEXT) | instid1(VALU_DEP_2)
	v_cmp_ne_u32_e32 vcc_lo, 0, v3
	v_cmp_ne_u32_e64 s0, 0, v5
	s_delay_alu instid0(VALU_DEP_4) | instskip(NEXT) | instid1(VALU_DEP_1)
	v_dual_cndmask_b32 v3, v11, v9, vcc_lo :: v_dual_cndmask_b32 v5, v10, v8, vcc_lo
	v_dual_cndmask_b32 v3, v7, v3, s0 :: v_dual_bitop2_b32 v4, s42, v4 bitop3:0x14
	s_delay_alu instid0(VALU_DEP_1) | instskip(NEXT) | instid1(VALU_DEP_2)
	v_dual_cndmask_b32 v6, v6, v5, s0 :: v_dual_mov_b32 v5, v4
	v_xor_b32_e32 v7, v3, v4
	s_delay_alu instid0(VALU_DEP_2) | instskip(NEXT) | instid1(VALU_DEP_1)
	v_xor_b32_e32 v6, v6, v4
	v_sub_nc_u64_e32 v[4:5], v[6:7], v[4:5]
.LBB17_6:                               ;   in Loop: Header=BB17_4 Depth=1
	s_and_not1_saveexec_b32 s0, s1
	s_cbranch_execz .LBB17_8
; %bb.7:                                ;   in Loop: Header=BB17_4 Depth=1
	v_mul_hi_u32 v3, v0, v12
	s_delay_alu instid0(VALU_DEP_1) | instskip(NEXT) | instid1(VALU_DEP_1)
	v_mul_lo_u32 v4, v3, s6
	v_dual_add_nc_u32 v5, 1, v3 :: v_dual_sub_nc_u32 v4, v0, v4
	s_delay_alu instid0(VALU_DEP_1) | instskip(SKIP_1) | instid1(VALU_DEP_2)
	v_subrev_nc_u32_e32 v6, s6, v4
	v_cmp_le_u32_e32 vcc_lo, s6, v4
	v_dual_cndmask_b32 v4, v4, v6 :: v_dual_cndmask_b32 v3, v3, v5
	s_delay_alu instid0(VALU_DEP_1) | instskip(NEXT) | instid1(VALU_DEP_2)
	v_cmp_le_u32_e32 vcc_lo, s6, v4
	v_add_nc_u32_e32 v5, 1, v3
	s_delay_alu instid0(VALU_DEP_1)
	v_dual_cndmask_b32 v4, v3, v5 :: v_dual_mov_b32 v5, v2
.LBB17_8:                               ;   in Loop: Header=BB17_4 Depth=1
	s_or_b32 exec_lo, exec_lo, s0
	s_delay_alu instid0(VALU_DEP_1) | instskip(SKIP_1) | instid1(VALU_DEP_1)
	v_or_b32_e32 v3, s5, v5
                                        ; implicit-def: $vgpr10_vgpr11
	s_mov_b32 s0, exec_lo
	v_cmpx_ne_u64_e32 0, v[2:3]
	s_xor_b32 s1, exec_lo, s0
	s_cbranch_execz .LBB17_10
; %bb.9:                                ;   in Loop: Header=BB17_4 Depth=1
	s_mov_b32 s45, s44
	v_dual_mov_b32 v11, v2 :: v_dual_ashrrev_i32 v6, 31, v5
	s_add_nc_u64 s[46:47], s[4:5], s[44:45]
	s_delay_alu instid0(SALU_CYCLE_1) | instskip(NEXT) | instid1(VALU_DEP_1)
	s_xor_b64 s[46:47], s[46:47], s[44:45]
	v_mov_b32_e32 v7, v6
	s_cvt_f32_u32 s0, s46
	s_cvt_f32_u32 s22, s47
	s_sub_nc_u64 s[56:57], 0, s[46:47]
	s_delay_alu instid0(VALU_DEP_1) | instskip(NEXT) | instid1(SALU_CYCLE_1)
	v_add_nc_u64_e32 v[8:9], v[4:5], v[6:7]
	s_fmamk_f32 s0, s22, 0x4f800000, s0
	v_mov_b32_e32 v17, v2
	s_delay_alu instid0(SALU_CYCLE_2) | instskip(NEXT) | instid1(VALU_DEP_2)
	v_s_rcp_f32 s0, s0
	v_xor_b32_e32 v10, v8, v6
	s_delay_alu instid0(VALU_DEP_3) | instskip(NEXT) | instid1(TRANS32_DEP_1)
	v_dual_mov_b32 v21, v2 :: v_dual_bitop2_b32 v16, v9, v6 bitop3:0x14
	s_mul_f32 s0, s0, 0x5f7ffffc
	s_delay_alu instid0(SALU_CYCLE_3) | instskip(NEXT) | instid1(SALU_CYCLE_3)
	s_mul_f32 s22, s0, 0x2f800000
	s_trunc_f32 s22, s22
	s_delay_alu instid0(SALU_CYCLE_3) | instskip(SKIP_1) | instid1(SALU_CYCLE_2)
	s_fmamk_f32 s0, s22, 0xcf800000, s0
	s_cvt_u32_f32 s55, s22
	s_cvt_u32_f32 s54, s0
	s_delay_alu instid0(SALU_CYCLE_3) | instskip(NEXT) | instid1(SALU_CYCLE_1)
	s_mul_u64 s[58:59], s[56:57], s[54:55]
	s_mul_hi_u32 s61, s54, s59
	s_mul_i32 s60, s54, s59
	s_mul_hi_u32 s22, s54, s58
	s_mul_i32 s43, s55, s58
	s_add_nc_u64 s[60:61], s[22:23], s[60:61]
	s_mul_hi_u32 s0, s55, s58
	s_mul_hi_u32 s45, s55, s59
	s_add_co_u32 s22, s60, s43
	s_add_co_ci_u32 s22, s61, s0
	s_mul_i32 s58, s55, s59
	s_add_co_ci_u32 s59, s45, 0
	s_delay_alu instid0(SALU_CYCLE_1) | instskip(NEXT) | instid1(SALU_CYCLE_1)
	s_add_nc_u64 s[58:59], s[22:23], s[58:59]
	s_add_co_u32 s54, s54, s58
	s_cselect_b32 s0, -1, 0
	s_delay_alu instid0(SALU_CYCLE_1) | instskip(SKIP_1) | instid1(SALU_CYCLE_1)
	s_cmp_lg_u32 s0, 0
	s_add_co_ci_u32 s55, s55, s59
	s_mul_u64 s[56:57], s[56:57], s[54:55]
	s_delay_alu instid0(SALU_CYCLE_1)
	s_mul_hi_u32 s59, s54, s57
	s_mul_i32 s58, s54, s57
	s_mul_hi_u32 s22, s54, s56
	s_mul_i32 s43, s55, s56
	s_add_nc_u64 s[58:59], s[22:23], s[58:59]
	s_mul_hi_u32 s0, s55, s56
	s_mul_hi_u32 s45, s55, s57
	s_add_co_u32 s22, s58, s43
	s_add_co_ci_u32 s22, s59, s0
	s_mul_i32 s56, s55, s57
	s_add_co_ci_u32 s57, s45, 0
	s_delay_alu instid0(SALU_CYCLE_1) | instskip(NEXT) | instid1(SALU_CYCLE_1)
	s_add_nc_u64 s[56:57], s[22:23], s[56:57]
	s_add_co_u32 s0, s54, s56
	s_cselect_b32 s22, -1, 0
	v_mul_hi_u32 v20, v10, s0
	s_cmp_lg_u32 s22, 0
	s_add_co_ci_u32 s22, s55, s57
	s_and_b64 s[54:55], s[0:1], s[40:41]
	v_mul_u64_e32 v[14:15], s[22:23], v[10:11]
	v_mul_u64_e32 v[8:9], s[54:55], v[16:17]
	;; [unrolled: 1-line block ×3, first 2 shown]
	s_delay_alu instid0(VALU_DEP_3) | instskip(NEXT) | instid1(VALU_DEP_1)
	v_add_nc_u64_e32 v[14:15], v[20:21], v[14:15]
	v_add_co_u32 v3, vcc_lo, v14, v8
	s_delay_alu instid0(VALU_DEP_2) | instskip(NEXT) | instid1(VALU_DEP_4)
	v_add_co_ci_u32_e32 v20, vcc_lo, v15, v9, vcc_lo
	v_add_co_ci_u32_e32 v19, vcc_lo, 0, v19, vcc_lo
	s_delay_alu instid0(VALU_DEP_1) | instskip(NEXT) | instid1(VALU_DEP_1)
	v_add_nc_u64_e32 v[8:9], v[20:21], v[18:19]
	v_mul_u64_e32 v[14:15], s[46:47], v[8:9]
	s_delay_alu instid0(VALU_DEP_1) | instskip(NEXT) | instid1(VALU_DEP_2)
	v_sub_nc_u32_e32 v3, v16, v15
	v_sub_co_u32 v5, vcc_lo, v10, v14
	s_delay_alu instid0(VALU_DEP_1) | instskip(NEXT) | instid1(VALU_DEP_3)
	v_sub_co_ci_u32_e64 v13, null, v16, v15, vcc_lo
	v_subrev_co_ci_u32_e64 v3, null, s47, v3, vcc_lo
	s_delay_alu instid0(VALU_DEP_3) | instskip(SKIP_1) | instid1(VALU_DEP_3)
	v_sub_co_u32 v7, s0, v5, s46
	v_add_nc_u64_e32 v[14:15], 1, v[8:9]
	v_subrev_co_ci_u32_e64 v3, null, 0, v3, s0
	s_delay_alu instid0(VALU_DEP_3) | instskip(SKIP_1) | instid1(VALU_DEP_3)
	v_cmp_le_u32_e32 vcc_lo, s46, v7
	v_cndmask_b32_e64 v7, 0, -1, vcc_lo
	v_cmp_le_u32_e32 vcc_lo, s47, v3
	v_cndmask_b32_e64 v10, 0, -1, vcc_lo
	;; [unrolled: 2-line block ×4, first 2 shown]
	v_cmp_eq_u32_e32 vcc_lo, s47, v3
	v_cndmask_b32_e32 v3, v10, v7, vcc_lo
	v_cmp_eq_u32_e32 vcc_lo, s47, v13
	v_add_nc_u64_e32 v[10:11], 2, v[8:9]
	v_cndmask_b32_e32 v5, v16, v5, vcc_lo
	s_delay_alu instid0(VALU_DEP_4) | instskip(NEXT) | instid1(VALU_DEP_2)
	v_cmp_ne_u32_e32 vcc_lo, 0, v3
	v_cmp_ne_u32_e64 s0, 0, v5
	s_delay_alu instid0(VALU_DEP_4) | instskip(NEXT) | instid1(VALU_DEP_1)
	v_dual_cndmask_b32 v3, v15, v11, vcc_lo :: v_dual_cndmask_b32 v5, v14, v10, vcc_lo
	v_dual_cndmask_b32 v3, v9, v3, s0 :: v_dual_bitop2_b32 v6, s44, v6 bitop3:0x14
	s_delay_alu instid0(VALU_DEP_1) | instskip(NEXT) | instid1(VALU_DEP_2)
	v_dual_cndmask_b32 v5, v8, v5, s0 :: v_dual_mov_b32 v7, v6
	v_xor_b32_e32 v9, v3, v6
	s_delay_alu instid0(VALU_DEP_2) | instskip(NEXT) | instid1(VALU_DEP_1)
	v_xor_b32_e32 v8, v5, v6
	v_sub_nc_u64_e32 v[10:11], v[8:9], v[6:7]
.LBB17_10:                              ;   in Loop: Header=BB17_4 Depth=1
	s_and_not1_saveexec_b32 s0, s1
	s_cbranch_execz .LBB17_12
; %bb.11:                               ;   in Loop: Header=BB17_4 Depth=1
	v_cvt_f32_u32_e32 v3, s4
	s_sub_co_i32 s1, 0, s4
	v_mov_b32_e32 v11, v2
	s_delay_alu instid0(VALU_DEP_2) | instskip(SKIP_1) | instid1(TRANS32_DEP_1)
	v_rcp_iflag_f32_e32 v3, v3
	v_nop
	v_mul_f32_e32 v3, 0x4f7ffffe, v3
	s_delay_alu instid0(VALU_DEP_1) | instskip(NEXT) | instid1(VALU_DEP_1)
	v_cvt_u32_f32_e32 v3, v3
	v_mul_lo_u32 v5, s1, v3
	s_delay_alu instid0(VALU_DEP_1) | instskip(NEXT) | instid1(VALU_DEP_1)
	v_mul_hi_u32 v5, v3, v5
	v_add_nc_u32_e32 v3, v3, v5
	s_delay_alu instid0(VALU_DEP_1) | instskip(NEXT) | instid1(VALU_DEP_1)
	v_mul_hi_u32 v3, v4, v3
	v_mul_lo_u32 v5, v3, s4
	s_delay_alu instid0(VALU_DEP_1) | instskip(NEXT) | instid1(VALU_DEP_1)
	v_dual_add_nc_u32 v6, 1, v3 :: v_dual_sub_nc_u32 v5, v4, v5
	v_subrev_nc_u32_e32 v7, s4, v5
	v_cmp_le_u32_e32 vcc_lo, s4, v5
	s_delay_alu instid0(VALU_DEP_2) | instskip(NEXT) | instid1(VALU_DEP_1)
	v_dual_cndmask_b32 v5, v5, v7, vcc_lo :: v_dual_cndmask_b32 v3, v3, v6, vcc_lo
	v_cmp_le_u32_e32 vcc_lo, s4, v5
	s_delay_alu instid0(VALU_DEP_2) | instskip(NEXT) | instid1(VALU_DEP_1)
	v_add_nc_u32_e32 v6, 1, v3
	v_cndmask_b32_e32 v10, v3, v6, vcc_lo
.LBB17_12:                              ;   in Loop: Header=BB17_4 Depth=1
	s_or_b32 exec_lo, exec_lo, s0
	s_delay_alu instid0(VALU_DEP_1) | instskip(SKIP_2) | instid1(VALU_DEP_2)
	v_mul_lo_u32 v3, v10, s4
	s_mov_b32 s0, exec_lo
	v_dual_mov_b32 v6, 0 :: v_dual_mov_b32 v8, 0
	v_sub_nc_u32_e32 v3, v4, v3
	s_delay_alu instid0(VALU_DEP_1) | instskip(NEXT) | instid1(VALU_DEP_1)
	v_add_nc_u32_e32 v3, s16, v3
	v_cmpx_le_i32_e64 s12, v3
	s_cbranch_execz .LBB17_14
; %bb.13:                               ;   in Loop: Header=BB17_4 Depth=1
	v_subrev_nc_u32_e32 v8, s12, v3
	v_mov_b32_e32 v9, v2
	s_delay_alu instid0(VALU_DEP_1) | instskip(NEXT) | instid1(VALU_DEP_1)
	v_mul_u64_e32 v[14:15], s[30:31], v[8:9]
	v_mul_lo_u32 v5, v15, s25
	s_delay_alu instid0(VALU_DEP_1) | instskip(NEXT) | instid1(VALU_DEP_1)
	v_sub_nc_u32_e32 v5, v8, v5
	v_subrev_nc_u32_e32 v8, s25, v5
	v_cmp_le_u32_e32 vcc_lo, s25, v5
	s_delay_alu instid0(VALU_DEP_2) | instskip(NEXT) | instid1(VALU_DEP_1)
	v_dual_add_nc_u32 v7, 1, v15 :: v_dual_cndmask_b32 v5, v5, v8, vcc_lo
	v_cndmask_b32_e32 v7, v15, v7, vcc_lo
	s_delay_alu instid0(VALU_DEP_2) | instskip(NEXT) | instid1(VALU_DEP_2)
	v_cmp_le_u32_e32 vcc_lo, s25, v5
	v_add_nc_u32_e32 v8, 1, v7
	s_delay_alu instid0(VALU_DEP_1) | instskip(NEXT) | instid1(VALU_DEP_1)
	v_cndmask_b32_e32 v5, v7, v8, vcc_lo
	v_xor_b32_e32 v5, s50, v5
	s_delay_alu instid0(VALU_DEP_1) | instskip(NEXT) | instid1(VALU_DEP_1)
	v_subrev_nc_u32_e32 v5, s50, v5
	v_add_nc_u32_e32 v8, 1, v5
.LBB17_14:                              ;   in Loop: Header=BB17_4 Depth=1
	s_or_b32 exec_lo, exec_lo, s0
	v_mul_lo_u32 v4, v4, s6
	s_mov_b32 s0, exec_lo
	s_delay_alu instid0(VALU_DEP_1) | instskip(NEXT) | instid1(VALU_DEP_1)
	v_sub_nc_u32_e32 v4, v0, v4
	v_add_nc_u32_e32 v4, s17, v4
	s_delay_alu instid0(VALU_DEP_1)
	v_cmpx_le_i32_e64 s13, v4
	s_cbranch_execz .LBB17_16
; %bb.15:                               ;   in Loop: Header=BB17_4 Depth=1
	v_subrev_nc_u32_e32 v6, s13, v4
	v_mov_b32_e32 v7, v2
	s_delay_alu instid0(VALU_DEP_1) | instskip(NEXT) | instid1(VALU_DEP_1)
	v_mul_u64_e32 v[14:15], s[34:35], v[6:7]
	v_mul_lo_u32 v5, v15, s33
	s_delay_alu instid0(VALU_DEP_1) | instskip(NEXT) | instid1(VALU_DEP_1)
	v_dual_sub_nc_u32 v5, v6, v5 :: v_dual_add_nc_u32 v6, 1, v15
	v_cmp_le_u32_e32 vcc_lo, s33, v5
	s_delay_alu instid0(VALU_DEP_2) | instskip(SKIP_1) | instid1(VALU_DEP_1)
	v_cndmask_b32_e32 v6, v15, v6, vcc_lo
	v_subrev_nc_u32_e32 v7, s33, v5
	v_dual_cndmask_b32 v5, v5, v7, vcc_lo :: v_dual_add_nc_u32 v7, 1, v6
	s_delay_alu instid0(VALU_DEP_1) | instskip(NEXT) | instid1(VALU_DEP_2)
	v_cmp_le_u32_e32 vcc_lo, s33, v5
	v_cndmask_b32_e32 v5, v6, v7, vcc_lo
	s_delay_alu instid0(VALU_DEP_1) | instskip(NEXT) | instid1(VALU_DEP_1)
	v_xor_b32_e32 v5, s51, v5
	v_subrev_nc_u32_e32 v5, s51, v5
	s_delay_alu instid0(VALU_DEP_1)
	v_add_nc_u32_e32 v6, 1, v5
.LBB17_16:                              ;   in Loop: Header=BB17_4 Depth=1
	s_or_b32 exec_lo, exec_lo, s0
	v_dual_sub_nc_u32 v5, 0, v3 :: v_dual_mov_b32 v15, v2
	s_mov_b32 s22, exec_lo
	s_delay_alu instid0(VALU_DEP_1) | instskip(NEXT) | instid1(VALU_DEP_1)
	v_dual_ashrrev_i32 v3, 31, v3 :: v_dual_max_i32 v14, v3, v5
	v_mul_u64_e32 v[16:17], s[30:31], v[14:15]
	s_delay_alu instid0(VALU_DEP_1) | instskip(SKIP_1) | instid1(VALU_DEP_1)
	v_dual_add_nc_u32 v7, 1, v17 :: v_dual_bitop2_b32 v3, s50, v3 bitop3:0x14
	v_mul_lo_u32 v5, v17, s25
	v_sub_nc_u32_e32 v5, v14, v5
	s_delay_alu instid0(VALU_DEP_1) | instskip(SKIP_2) | instid1(VALU_DEP_1)
	v_subrev_nc_u32_e32 v9, s25, v5
	v_cmp_le_u32_e32 vcc_lo, s25, v5
	v_cndmask_b32_e32 v7, v17, v7, vcc_lo
	v_dual_cndmask_b32 v5, v5, v9, vcc_lo :: v_dual_add_nc_u32 v9, 1, v7
	s_delay_alu instid0(VALU_DEP_1) | instskip(NEXT) | instid1(VALU_DEP_2)
	v_cmp_le_u32_e32 vcc_lo, s25, v5
	v_cndmask_b32_e32 v5, v7, v9, vcc_lo
	s_delay_alu instid0(VALU_DEP_1) | instskip(NEXT) | instid1(VALU_DEP_1)
	v_xor_b32_e32 v5, v5, v3
	v_dual_sub_nc_u32 v3, v5, v3 :: v_dual_mov_b32 v5, 0
	s_delay_alu instid0(VALU_DEP_1) | instskip(NEXT) | instid1(VALU_DEP_1)
	v_add_min_i32_e64 v3, v3, 1, s8
	v_cmpx_lt_i32_e64 v8, v3
	s_cbranch_execz .LBB17_3
; %bb.17:                               ;   in Loop: Header=BB17_4 Depth=1
	v_dual_sub_nc_u32 v5, 0, v4 :: v_dual_mov_b32 v15, v2
	s_mov_b32 s43, 0
	s_delay_alu instid0(VALU_DEP_1) | instskip(SKIP_1) | instid1(VALU_DEP_2)
	v_dual_ashrrev_i32 v9, 31, v8 :: v_dual_max_i32 v14, v4, v5
	v_ashrrev_i32_e32 v4, 31, v4
	v_lshlrev_b64_e32 v[18:19], 1, v[8:9]
	s_delay_alu instid0(VALU_DEP_3) | instskip(NEXT) | instid1(VALU_DEP_3)
	v_mul_u64_e32 v[16:17], s[34:35], v[14:15]
	v_dual_mov_b32 v15, 0 :: v_dual_bitop2_b32 v4, s51, v4 bitop3:0x14
	s_delay_alu instid0(VALU_DEP_3) | instskip(NEXT) | instid1(VALU_DEP_1)
	v_mad_nc_u64_u32 v[18:19], s36, v10, v[18:19]
	v_mad_u32 v9, s37, v10, v19
	s_delay_alu instid0(VALU_DEP_1) | instskip(SKIP_1) | instid1(VALU_DEP_1)
	v_mad_u32 v9, s36, v11, v9
	v_mul_lo_u32 v5, v17, s33
	v_dual_ashrrev_i32 v7, 31, v6 :: v_dual_sub_nc_u32 v5, v14, v5
	s_delay_alu instid0(VALU_DEP_1) | instskip(SKIP_1) | instid1(VALU_DEP_3)
	v_lshlrev_b64_e32 v[20:21], 1, v[6:7]
	v_add_nc_u32_e32 v7, 1, v17
	v_subrev_nc_u32_e32 v10, s33, v5
	v_cmp_le_u32_e32 vcc_lo, s33, v5
	s_delay_alu instid0(VALU_DEP_4) | instskip(NEXT) | instid1(VALU_DEP_4)
	v_mad_nc_u64_u32 v[20:21], s10, v18, v[20:21]
	v_cndmask_b32_e32 v7, v17, v7, vcc_lo
	s_delay_alu instid0(VALU_DEP_1) | instskip(NEXT) | instid1(VALU_DEP_1)
	v_dual_cndmask_b32 v5, v5, v10 :: v_dual_add_nc_u32 v10, 1, v7
	v_cmp_le_u32_e32 vcc_lo, s33, v5
	s_delay_alu instid0(VALU_DEP_4) | instskip(NEXT) | instid1(VALU_DEP_3)
	v_mad_u32 v11, s11, v18, v21
	v_cndmask_b32_e32 v5, v7, v10, vcc_lo
	v_mul_lo_u32 v10, s15, v6
	s_delay_alu instid0(VALU_DEP_3) | instskip(NEXT) | instid1(VALU_DEP_2)
	v_mad_u32 v21, s10, v9, v11
	v_dual_add_nc_u32 v9, s9, v10 :: v_dual_bitop2_b32 v5, v5, v4 bitop3:0x14
	v_dual_add_nc_u32 v13, s52, v10 :: v_dual_sub_nc_u32 v14, s17, v10
	s_delay_alu instid0(VALU_DEP_2) | instskip(NEXT) | instid1(VALU_DEP_1)
	v_sub_nc_u32_e32 v4, v5, v4
	v_add_min_i32_e64 v7, v4, 1, s10
	s_wait_kmcnt 0x0
	v_add_nc_u64_e32 v[4:5], s[26:27], v[20:21]
	s_delay_alu instid0(VALU_DEP_2)
	v_cmp_lt_i32_e32 vcc_lo, v6, v7
	s_branch .LBB17_20
.LBB17_18:                              ;   in Loop: Header=BB17_20 Depth=2
	s_or_b32 exec_lo, exec_lo, s46
.LBB17_19:                              ;   in Loop: Header=BB17_20 Depth=2
	s_delay_alu instid0(SALU_CYCLE_1) | instskip(SKIP_2) | instid1(VALU_DEP_2)
	s_or_b32 exec_lo, exec_lo, s45
	v_add_nc_u32_e32 v8, 1, v8
	v_add_nc_u64_e32 v[4:5], s[38:39], v[4:5]
	v_cmp_ge_i32_e64 s0, v8, v3
	s_or_b32 s43, s0, s43
	s_delay_alu instid0(SALU_CYCLE_1)
	s_and_not1_b32 exec_lo, exec_lo, s43
	s_cbranch_execz .LBB17_2
.LBB17_20:                              ;   Parent Loop BB17_4 Depth=1
                                        ; =>  This Loop Header: Depth=2
                                        ;       Child Loop BB17_23 Depth 3
	s_and_saveexec_b32 s45, vcc_lo
	s_cbranch_execz .LBB17_19
; %bb.21:                               ;   in Loop: Header=BB17_20 Depth=2
	v_mul_lo_u32 v10, v8, s14
	s_mov_b32 s46, 0
	v_mov_b32_e32 v17, v13
	s_delay_alu instid0(VALU_DEP_2) | instskip(SKIP_2) | instid1(VALU_DEP_3)
	v_subrev_nc_u32_e32 v19, s16, v10
	v_mov_b32_e32 v16, v14
	v_mov_b64_e32 v[10:11], v[4:5]
	v_add_min_i32_e64 v20, v19, s12, s48
	v_dual_mov_b32 v18, v9 :: v_dual_max_i32 v21, 0, v19
	s_delay_alu instid0(VALU_DEP_2) | instskip(NEXT) | instid1(VALU_DEP_1)
	v_dual_sub_nc_u32 v19, v20, v19 :: v_dual_min_i32 v22, s4, v20
	v_cmp_gt_i32_e64 s0, v22, v21
	v_sub_nc_u32_e32 v20, v22, v21
	v_mov_b32_e32 v21, v6
	s_branch .LBB17_23
.LBB17_22:                              ;   in Loop: Header=BB17_23 Depth=3
	s_wait_xcnt 0x0
	s_or_b32 exec_lo, exec_lo, s1
	v_dual_add_nc_u32 v21, 1, v21 :: v_dual_add_nc_u32 v18, s15, v18
	v_add_nc_u64_e32 v[10:11], 2, v[10:11]
	v_add_nc_u32_e32 v17, s15, v17
	v_subrev_nc_u32_e32 v16, s15, v16
	s_delay_alu instid0(VALU_DEP_4) | instskip(SKIP_1) | instid1(SALU_CYCLE_1)
	v_cmp_ge_i32_e64 s1, v21, v7
	s_or_b32 s46, s1, s46
	s_and_not1_b32 exec_lo, exec_lo, s46
	s_cbranch_execz .LBB17_18
.LBB17_23:                              ;   Parent Loop BB17_4 Depth=1
                                        ;     Parent Loop BB17_20 Depth=2
                                        ; =>    This Inner Loop Header: Depth=3
	v_dual_add_nc_u32 v23, s13, v18 :: v_dual_max_i32 v22, 0, v18
	s_delay_alu instid0(VALU_DEP_1) | instskip(NEXT) | instid1(VALU_DEP_1)
	v_min3_i32 v23, v23, s49, s6
	v_cmp_gt_i32_e64 s1, v23, v22
	s_and_b32 s47, s0, s1
	s_delay_alu instid0(SALU_CYCLE_1)
	s_and_saveexec_b32 s1, s47
	s_cbranch_execz .LBB17_22
; %bb.24:                               ;   in Loop: Header=BB17_23 Depth=3
	global_load_u16 v24, v[10:11], off
	v_dual_sub_nc_u32 v22, v23, v22 :: v_dual_min_i32 v25, s49, v17
	s_delay_alu instid0(VALU_DEP_1) | instskip(NEXT) | instid1(VALU_DEP_2)
	v_mul_lo_u32 v22, v22, v20
	v_add_nc_u32_e32 v25, v25, v16
	s_delay_alu instid0(VALU_DEP_1) | instskip(NEXT) | instid1(VALU_DEP_1)
	v_mul_lo_u32 v23, v25, v19
	v_cndmask_b32_e64 v22, v22, v23, s2
	s_delay_alu instid0(VALU_DEP_1) | instskip(NEXT) | instid1(VALU_DEP_1)
	v_cndmask_b32_e64 v22, v22, s24, s3
	v_cvt_f32_i32_e32 v22, v22
	s_delay_alu instid0(VALU_DEP_1) | instskip(NEXT) | instid1(VALU_DEP_1)
	v_cvt_f16_f32_e32 v22, v22
	v_cvt_f32_f16_e32 v23, v22
	s_delay_alu instid0(VALU_DEP_1)
	v_rcp_f32_e32 v23, v23
	s_wait_loadcnt 0x0
	v_cvt_f32_f16_e32 v25, v24
	s_delay_alu instid0(TRANS32_DEP_1) | instid1(VALU_DEP_1)
	v_mul_f32_e32 v25, v25, v23
	s_delay_alu instid0(VALU_DEP_1) | instskip(NEXT) | instid1(VALU_DEP_1)
	v_fma_mix_f32 v26, -v22, v25, v24 op_sel_hi:[1,0,1]
	v_fmac_f32_e32 v25, v26, v23
	s_delay_alu instid0(VALU_DEP_1) | instskip(NEXT) | instid1(VALU_DEP_1)
	v_fma_mix_f32 v26, -v22, v25, v24 op_sel_hi:[1,0,1]
	v_mul_f32_e32 v23, v26, v23
	s_delay_alu instid0(VALU_DEP_1) | instskip(NEXT) | instid1(VALU_DEP_1)
	v_and_b32_e32 v23, 0xff800000, v23
	v_add_f32_e32 v23, v23, v25
	s_delay_alu instid0(VALU_DEP_1) | instskip(NEXT) | instid1(VALU_DEP_1)
	v_cvt_f16_f32_e32 v23, v23
	v_div_fixup_f16 v22, v23, v22, v24
	s_delay_alu instid0(VALU_DEP_1) | instskip(NEXT) | instid1(VALU_DEP_1)
	v_cvt_f32_f16_e32 v22, v22
	v_add_f32_e32 v15, v15, v22
	s_branch .LBB17_22
.LBB17_25:
	s_endpgm
	.section	.rodata,"a",@progbits
	.p2align	6, 0x0
	.amdhsa_kernel _ZN2at6native12_GLOBAL__N_134avg_pool2d_backward_out_cuda_frameIN3c104HalfEfiEEvT1_PKT_llllliiiiiiPS6_ibb
		.amdhsa_group_segment_fixed_size 0
		.amdhsa_private_segment_fixed_size 0
		.amdhsa_kernarg_size 352
		.amdhsa_user_sgpr_count 2
		.amdhsa_user_sgpr_dispatch_ptr 0
		.amdhsa_user_sgpr_queue_ptr 0
		.amdhsa_user_sgpr_kernarg_segment_ptr 1
		.amdhsa_user_sgpr_dispatch_id 0
		.amdhsa_user_sgpr_kernarg_preload_length 0
		.amdhsa_user_sgpr_kernarg_preload_offset 0
		.amdhsa_user_sgpr_private_segment_size 0
		.amdhsa_wavefront_size32 1
		.amdhsa_uses_dynamic_stack 0
		.amdhsa_enable_private_segment 0
		.amdhsa_system_sgpr_workgroup_id_x 1
		.amdhsa_system_sgpr_workgroup_id_y 0
		.amdhsa_system_sgpr_workgroup_id_z 0
		.amdhsa_system_sgpr_workgroup_info 0
		.amdhsa_system_vgpr_workitem_id 0
		.amdhsa_next_free_vgpr 27
		.amdhsa_next_free_sgpr 62
		.amdhsa_named_barrier_count 0
		.amdhsa_reserve_vcc 1
		.amdhsa_float_round_mode_32 0
		.amdhsa_float_round_mode_16_64 0
		.amdhsa_float_denorm_mode_32 3
		.amdhsa_float_denorm_mode_16_64 3
		.amdhsa_fp16_overflow 0
		.amdhsa_memory_ordered 1
		.amdhsa_forward_progress 1
		.amdhsa_inst_pref_size 24
		.amdhsa_round_robin_scheduling 0
		.amdhsa_exception_fp_ieee_invalid_op 0
		.amdhsa_exception_fp_denorm_src 0
		.amdhsa_exception_fp_ieee_div_zero 0
		.amdhsa_exception_fp_ieee_overflow 0
		.amdhsa_exception_fp_ieee_underflow 0
		.amdhsa_exception_fp_ieee_inexact 0
		.amdhsa_exception_int_div_zero 0
	.end_amdhsa_kernel
	.section	.text._ZN2at6native12_GLOBAL__N_134avg_pool2d_backward_out_cuda_frameIN3c104HalfEfiEEvT1_PKT_llllliiiiiiPS6_ibb,"axG",@progbits,_ZN2at6native12_GLOBAL__N_134avg_pool2d_backward_out_cuda_frameIN3c104HalfEfiEEvT1_PKT_llllliiiiiiPS6_ibb,comdat
.Lfunc_end17:
	.size	_ZN2at6native12_GLOBAL__N_134avg_pool2d_backward_out_cuda_frameIN3c104HalfEfiEEvT1_PKT_llllliiiiiiPS6_ibb, .Lfunc_end17-_ZN2at6native12_GLOBAL__N_134avg_pool2d_backward_out_cuda_frameIN3c104HalfEfiEEvT1_PKT_llllliiiiiiPS6_ibb
                                        ; -- End function
	.set _ZN2at6native12_GLOBAL__N_134avg_pool2d_backward_out_cuda_frameIN3c104HalfEfiEEvT1_PKT_llllliiiiiiPS6_ibb.num_vgpr, 27
	.set _ZN2at6native12_GLOBAL__N_134avg_pool2d_backward_out_cuda_frameIN3c104HalfEfiEEvT1_PKT_llllliiiiiiPS6_ibb.num_agpr, 0
	.set _ZN2at6native12_GLOBAL__N_134avg_pool2d_backward_out_cuda_frameIN3c104HalfEfiEEvT1_PKT_llllliiiiiiPS6_ibb.numbered_sgpr, 62
	.set _ZN2at6native12_GLOBAL__N_134avg_pool2d_backward_out_cuda_frameIN3c104HalfEfiEEvT1_PKT_llllliiiiiiPS6_ibb.num_named_barrier, 0
	.set _ZN2at6native12_GLOBAL__N_134avg_pool2d_backward_out_cuda_frameIN3c104HalfEfiEEvT1_PKT_llllliiiiiiPS6_ibb.private_seg_size, 0
	.set _ZN2at6native12_GLOBAL__N_134avg_pool2d_backward_out_cuda_frameIN3c104HalfEfiEEvT1_PKT_llllliiiiiiPS6_ibb.uses_vcc, 1
	.set _ZN2at6native12_GLOBAL__N_134avg_pool2d_backward_out_cuda_frameIN3c104HalfEfiEEvT1_PKT_llllliiiiiiPS6_ibb.uses_flat_scratch, 0
	.set _ZN2at6native12_GLOBAL__N_134avg_pool2d_backward_out_cuda_frameIN3c104HalfEfiEEvT1_PKT_llllliiiiiiPS6_ibb.has_dyn_sized_stack, 0
	.set _ZN2at6native12_GLOBAL__N_134avg_pool2d_backward_out_cuda_frameIN3c104HalfEfiEEvT1_PKT_llllliiiiiiPS6_ibb.has_recursion, 0
	.set _ZN2at6native12_GLOBAL__N_134avg_pool2d_backward_out_cuda_frameIN3c104HalfEfiEEvT1_PKT_llllliiiiiiPS6_ibb.has_indirect_call, 0
	.section	.AMDGPU.csdata,"",@progbits
; Kernel info:
; codeLenInByte = 3016
; TotalNumSgprs: 64
; NumVgprs: 27
; ScratchSize: 0
; MemoryBound: 0
; FloatMode: 240
; IeeeMode: 1
; LDSByteSize: 0 bytes/workgroup (compile time only)
; SGPRBlocks: 0
; VGPRBlocks: 1
; NumSGPRsForWavesPerEU: 64
; NumVGPRsForWavesPerEU: 27
; NamedBarCnt: 0
; Occupancy: 16
; WaveLimiterHint : 0
; COMPUTE_PGM_RSRC2:SCRATCH_EN: 0
; COMPUTE_PGM_RSRC2:USER_SGPR: 2
; COMPUTE_PGM_RSRC2:TRAP_HANDLER: 0
; COMPUTE_PGM_RSRC2:TGID_X_EN: 1
; COMPUTE_PGM_RSRC2:TGID_Y_EN: 0
; COMPUTE_PGM_RSRC2:TGID_Z_EN: 0
; COMPUTE_PGM_RSRC2:TIDIG_COMP_CNT: 0
	.section	.text._ZN2at6native12_GLOBAL__N_139avg_pool2d_backward_out_cuda_frame_nhwcIN3c104HalfEflEEvT1_PKT_llliiiiiiiiPS6_ibb,"axG",@progbits,_ZN2at6native12_GLOBAL__N_139avg_pool2d_backward_out_cuda_frame_nhwcIN3c104HalfEflEEvT1_PKT_llliiiiiiiiPS6_ibb,comdat
	.globl	_ZN2at6native12_GLOBAL__N_139avg_pool2d_backward_out_cuda_frame_nhwcIN3c104HalfEflEEvT1_PKT_llliiiiiiiiPS6_ibb ; -- Begin function _ZN2at6native12_GLOBAL__N_139avg_pool2d_backward_out_cuda_frame_nhwcIN3c104HalfEflEEvT1_PKT_llliiiiiiiiPS6_ibb
	.p2align	8
	.type	_ZN2at6native12_GLOBAL__N_139avg_pool2d_backward_out_cuda_frame_nhwcIN3c104HalfEflEEvT1_PKT_llliiiiiiiiPS6_ibb,@function
_ZN2at6native12_GLOBAL__N_139avg_pool2d_backward_out_cuda_frame_nhwcIN3c104HalfEflEEvT1_PKT_llliiiiiiiiPS6_ibb: ; @_ZN2at6native12_GLOBAL__N_139avg_pool2d_backward_out_cuda_frame_nhwcIN3c104HalfEflEEvT1_PKT_llliiiiiiiiPS6_ibb
; %bb.0:
	s_load_b32 s2, s[0:1], 0x64
	s_bfe_u32 s4, ttmp6, 0x4000c
	v_mov_b32_e32 v2, 0
	s_add_co_i32 s13, s4, 1
	s_load_b256 s[4:11], s[0:1], 0x0
	s_and_b32 s3, ttmp6, 15
	s_mul_i32 s13, ttmp9, s13
	s_getreg_b32 s12, hwreg(HW_REG_IB_STS2, 6, 4)
	v_mov_b32_e32 v1, v2
	s_add_co_i32 s3, s3, s13
	s_wait_kmcnt 0x0
	s_and_b32 s2, s2, 0xffff
	s_cmp_eq_u32 s12, 0
	s_mov_b32 s12, exec_lo
	s_cselect_b32 s3, ttmp9, s3
	s_delay_alu instid0(SALU_CYCLE_1) | instskip(SKIP_1) | instid1(VALU_DEP_1)
	v_mad_nc_u64_u32 v[0:1], s2, s3, v[0:1]
	s_mov_b32 s3, 0
	v_cmpx_gt_i64_e64 s[4:5], v[0:1]
	s_cbranch_execz .LBB18_29
; %bb.1:
	s_clause 0x2
	s_load_b128 s[20:23], s[0:1], 0x48
	s_load_b256 s[12:19], s[0:1], 0x28
	s_load_b32 s28, s[0:1], 0x54
	v_cvt_f32_u32_e32 v3, s8
	s_add_nc_u64 s[26:27], s[0:1], 0x58
	s_load_b32 s30, s[26:27], 0x0
	s_load_b64 s[24:25], s[0:1], 0x20
	s_wait_xcnt 0x0
	s_mov_b32 s27, s3
	v_rcp_iflag_f32_e32 v3, v3
	s_mov_b32 s29, s3
	s_mov_b32 s31, s3
	s_mov_b64 s[34:35], 0xffffffff
	s_mov_b32 s51, 0
	v_nop
	s_delay_alu instid0(TRANS32_DEP_1) | instskip(NEXT) | instid1(VALU_DEP_1)
	v_mul_f32_e32 v3, 0x4f7ffffe, v3
	v_cvt_u32_f32_e32 v10, v3
	s_wait_kmcnt 0x0
	s_bitcmp1_b32 s23, 0
	s_mov_b32 s38, s12
	s_cselect_b32 s0, -1, 0
	s_bitcmp1_b32 s28, 8
	s_mul_i32 s26, s30, s2
	s_cselect_b32 s23, -1, 0
	s_abs_i32 s33, s16
	s_abs_i32 s44, s17
	s_cvt_f32_u32 s1, s33
	s_cvt_f32_u32 s28, s44
	s_sub_co_i32 s30, 0, s44
	s_ashr_i32 s39, s12, 31
	v_rcp_iflag_f32_e32 v3, s1
	v_rcp_iflag_f32_e32 v4, s28
	s_sub_co_i32 s28, 0, s33
	s_mov_b32 s40, s13
	s_ashr_i32 s41, s13, 31
	s_mul_u64 s[38:39], s[8:9], s[38:39]
	s_add_co_i32 s45, s18, s10
	v_readfirstlane_b32 s1, v3
	v_readfirstlane_b32 s2, v4
	s_add_co_i32 s46, s19, s24
	s_ashr_i32 s47, s16, 31
	s_ashr_i32 s48, s17, 31
	s_mul_f32 s1, s1, 0x4f7ffffe
	s_mul_f32 s2, s2, 0x4f7ffffe
	s_sub_co_i32 s49, 0, s19
	s_sub_co_i32 s50, s15, s19
	s_cvt_u32_f32 s1, s1
	s_cvt_u32_f32 s2, s2
	s_ashr_i32 s36, s9, 31
	s_mul_u64 s[38:39], s[38:39], s[40:41]
	s_mul_i32 s28, s28, s1
	s_mul_i32 s30, s30, s2
	s_mul_hi_u32 s28, s1, s28
	s_mul_hi_u32 s30, s2, s30
	s_add_co_i32 s28, s1, s28
	s_add_co_i32 s30, s2, s30
	s_branch .LBB18_4
.LBB18_2:                               ;   in Loop: Header=BB18_4 Depth=1
	s_or_b32 exec_lo, exec_lo, s40
	v_cvt_f16_f32_e32 v5, v14
.LBB18_3:                               ;   in Loop: Header=BB18_4 Depth=1
	s_or_b32 exec_lo, exec_lo, s37
	v_lshl_add_u64 v[6:7], v[0:1], 1, s[20:21]
	v_add_nc_u64_e32 v[0:1], s[26:27], v[0:1]
	global_store_b16 v[6:7], v5, off
	v_cmp_le_i64_e32 vcc_lo, s[4:5], v[0:1]
	s_or_b32 s51, vcc_lo, s51
	s_wait_xcnt 0x0
	s_and_not1_b32 exec_lo, exec_lo, s51
	s_cbranch_execz .LBB18_29
.LBB18_4:                               ; =>This Loop Header: Depth=1
                                        ;     Child Loop BB18_24 Depth 2
                                        ;       Child Loop BB18_27 Depth 3
	v_or_b32_e32 v3, s9, v1
                                        ; implicit-def: $vgpr4_vgpr5
	s_mov_b32 s1, exec_lo
	s_delay_alu instid0(VALU_DEP_1)
	v_cmpx_ne_u64_e32 0, v[2:3]
	s_xor_b32 s42, exec_lo, s1
	s_cbranch_execz .LBB18_6
; %bb.5:                                ;   in Loop: Header=BB18_4 Depth=1
	s_mov_b32 s37, s36
	v_dual_mov_b32 v9, v2 :: v_dual_ashrrev_i32 v4, 31, v1
	s_add_nc_u64 s[40:41], s[8:9], s[36:37]
	v_mov_b32_e32 v19, v2
	s_xor_b64 s[40:41], s[40:41], s[36:37]
	s_delay_alu instid0(VALU_DEP_2) | instskip(SKIP_3) | instid1(VALU_DEP_1)
	v_mov_b32_e32 v5, v4
	s_cvt_f32_u32 s1, s40
	s_cvt_f32_u32 s2, s41
	s_sub_nc_u64 s[54:55], 0, s[40:41]
	v_add_nc_u64_e32 v[6:7], v[0:1], v[4:5]
	s_delay_alu instid0(SALU_CYCLE_1) | instskip(SKIP_1) | instid1(SALU_CYCLE_2)
	s_fmamk_f32 s1, s2, 0x4f800000, s1
	v_mov_b32_e32 v15, v2
	v_s_rcp_f32 s1, s1
	s_delay_alu instid0(VALU_DEP_2) | instskip(NEXT) | instid1(VALU_DEP_3)
	v_xor_b32_e32 v8, v6, v4
	v_xor_b32_e32 v14, v7, v4
	;; [unrolled: 1-line block ×3, first 2 shown]
	s_delay_alu instid0(TRANS32_DEP_1) | instskip(NEXT) | instid1(SALU_CYCLE_3)
	s_mul_f32 s1, s1, 0x5f7ffffc
	s_mul_f32 s2, s1, 0x2f800000
	s_delay_alu instid0(SALU_CYCLE_3) | instskip(NEXT) | instid1(SALU_CYCLE_3)
	s_trunc_f32 s2, s2
	s_fmamk_f32 s1, s2, 0xcf800000, s1
	s_cvt_u32_f32 s53, s2
	s_delay_alu instid0(SALU_CYCLE_2) | instskip(NEXT) | instid1(SALU_CYCLE_3)
	s_cvt_u32_f32 s52, s1
	s_mul_u64 s[56:57], s[54:55], s[52:53]
	s_delay_alu instid0(SALU_CYCLE_1)
	s_mul_hi_u32 s59, s52, s57
	s_mul_i32 s58, s52, s57
	s_mul_hi_u32 s2, s52, s56
	s_mul_i32 s37, s53, s56
	s_add_nc_u64 s[58:59], s[2:3], s[58:59]
	s_mul_hi_u32 s1, s53, s56
	s_mul_hi_u32 s43, s53, s57
	s_add_co_u32 s2, s58, s37
	s_add_co_ci_u32 s2, s59, s1
	s_mul_i32 s56, s53, s57
	s_add_co_ci_u32 s57, s43, 0
	s_delay_alu instid0(SALU_CYCLE_1) | instskip(NEXT) | instid1(SALU_CYCLE_1)
	s_add_nc_u64 s[56:57], s[2:3], s[56:57]
	s_add_co_u32 s52, s52, s56
	s_cselect_b32 s1, -1, 0
	s_delay_alu instid0(SALU_CYCLE_1) | instskip(SKIP_1) | instid1(SALU_CYCLE_1)
	s_cmp_lg_u32 s1, 0
	s_add_co_ci_u32 s53, s53, s57
	s_mul_u64 s[54:55], s[54:55], s[52:53]
	s_delay_alu instid0(SALU_CYCLE_1)
	s_mul_hi_u32 s57, s52, s55
	s_mul_i32 s56, s52, s55
	s_mul_hi_u32 s2, s52, s54
	s_mul_i32 s37, s53, s54
	s_add_nc_u64 s[56:57], s[2:3], s[56:57]
	s_mul_hi_u32 s1, s53, s54
	s_mul_hi_u32 s43, s53, s55
	s_add_co_u32 s2, s56, s37
	s_add_co_ci_u32 s2, s57, s1
	s_mul_i32 s54, s53, s55
	s_add_co_ci_u32 s55, s43, 0
	s_delay_alu instid0(SALU_CYCLE_1) | instskip(NEXT) | instid1(SALU_CYCLE_1)
	s_add_nc_u64 s[54:55], s[2:3], s[54:55]
	s_add_co_u32 s52, s52, s54
	s_cselect_b32 s1, -1, 0
	v_mul_hi_u32 v18, v8, s52
	s_cmp_lg_u32 s1, 0
	s_add_co_ci_u32 s2, s53, s55
	s_and_b64 s[54:55], s[52:53], s[34:35]
	v_mul_u64_e32 v[12:13], s[2:3], v[8:9]
	v_mul_u64_e32 v[6:7], s[54:55], v[14:15]
	;; [unrolled: 1-line block ×3, first 2 shown]
	s_delay_alu instid0(VALU_DEP_3) | instskip(NEXT) | instid1(VALU_DEP_1)
	v_add_nc_u64_e32 v[12:13], v[18:19], v[12:13]
	v_add_co_u32 v3, vcc_lo, v12, v6
	s_delay_alu instid0(VALU_DEP_2) | instskip(NEXT) | instid1(VALU_DEP_4)
	v_add_co_ci_u32_e32 v18, vcc_lo, v13, v7, vcc_lo
	v_add_co_ci_u32_e32 v17, vcc_lo, 0, v17, vcc_lo
	s_delay_alu instid0(VALU_DEP_1) | instskip(NEXT) | instid1(VALU_DEP_1)
	v_add_nc_u64_e32 v[6:7], v[18:19], v[16:17]
	v_mul_u64_e32 v[12:13], s[40:41], v[6:7]
	s_delay_alu instid0(VALU_DEP_1) | instskip(NEXT) | instid1(VALU_DEP_2)
	v_sub_nc_u32_e32 v3, v14, v13
	v_sub_co_u32 v5, vcc_lo, v8, v12
	s_delay_alu instid0(VALU_DEP_1) | instskip(NEXT) | instid1(VALU_DEP_3)
	v_sub_co_ci_u32_e64 v11, null, v14, v13, vcc_lo
	v_subrev_co_ci_u32_e64 v3, null, s41, v3, vcc_lo
	s_delay_alu instid0(VALU_DEP_3) | instskip(SKIP_1) | instid1(VALU_DEP_3)
	v_sub_co_u32 v8, s1, v5, s40
	v_add_nc_u64_e32 v[12:13], 1, v[6:7]
	v_subrev_co_ci_u32_e64 v3, null, 0, v3, s1
	s_delay_alu instid0(VALU_DEP_3) | instskip(SKIP_1) | instid1(VALU_DEP_3)
	v_cmp_le_u32_e32 vcc_lo, s40, v8
	v_cndmask_b32_e64 v8, 0, -1, vcc_lo
	v_cmp_le_u32_e32 vcc_lo, s41, v3
	v_cndmask_b32_e64 v9, 0, -1, vcc_lo
	;; [unrolled: 2-line block ×4, first 2 shown]
	v_cmp_eq_u32_e32 vcc_lo, s41, v3
	v_cndmask_b32_e32 v3, v9, v8, vcc_lo
	v_cmp_eq_u32_e32 vcc_lo, s41, v11
	v_add_nc_u64_e32 v[8:9], 2, v[6:7]
	v_cndmask_b32_e32 v5, v14, v5, vcc_lo
	s_delay_alu instid0(VALU_DEP_4) | instskip(NEXT) | instid1(VALU_DEP_2)
	v_cmp_ne_u32_e32 vcc_lo, 0, v3
	v_cmp_ne_u32_e64 s1, 0, v5
	s_delay_alu instid0(VALU_DEP_4) | instskip(NEXT) | instid1(VALU_DEP_1)
	v_dual_cndmask_b32 v3, v13, v9, vcc_lo :: v_dual_cndmask_b32 v5, v12, v8, vcc_lo
	v_dual_cndmask_b32 v6, v6, v5, s1 :: v_dual_mov_b32 v5, v4
	s_delay_alu instid0(VALU_DEP_1) | instskip(NEXT) | instid1(VALU_DEP_1)
	v_dual_cndmask_b32 v3, v7, v3, s1 :: v_dual_bitop2_b32 v6, v6, v4 bitop3:0x14
	v_xor_b32_e32 v7, v3, v4
	s_delay_alu instid0(VALU_DEP_1)
	v_sub_nc_u64_e32 v[4:5], v[6:7], v[4:5]
.LBB18_6:                               ;   in Loop: Header=BB18_4 Depth=1
	s_and_not1_saveexec_b32 s1, s42
	s_cbranch_execz .LBB18_8
; %bb.7:                                ;   in Loop: Header=BB18_4 Depth=1
	s_sub_co_i32 s2, 0, s8
	s_delay_alu instid0(SALU_CYCLE_1) | instskip(NEXT) | instid1(VALU_DEP_1)
	v_mul_lo_u32 v3, s2, v10
	v_mul_hi_u32 v3, v10, v3
	s_delay_alu instid0(VALU_DEP_1) | instskip(NEXT) | instid1(VALU_DEP_1)
	v_add_nc_u32_e32 v3, v10, v3
	v_mul_hi_u32 v3, v0, v3
	s_delay_alu instid0(VALU_DEP_1) | instskip(NEXT) | instid1(VALU_DEP_1)
	v_mul_lo_u32 v4, v3, s8
	v_sub_nc_u32_e32 v4, v0, v4
	s_delay_alu instid0(VALU_DEP_1) | instskip(SKIP_1) | instid1(VALU_DEP_2)
	v_subrev_nc_u32_e32 v6, s8, v4
	v_cmp_le_u32_e32 vcc_lo, s8, v4
	v_dual_cndmask_b32 v4, v4, v6 :: v_dual_add_nc_u32 v5, 1, v3
	s_delay_alu instid0(VALU_DEP_1) | instskip(NEXT) | instid1(VALU_DEP_2)
	v_cndmask_b32_e32 v3, v3, v5, vcc_lo
	v_cmp_le_u32_e32 vcc_lo, s8, v4
	s_delay_alu instid0(VALU_DEP_2) | instskip(NEXT) | instid1(VALU_DEP_1)
	v_add_nc_u32_e32 v5, 1, v3
	v_dual_cndmask_b32 v4, v3, v5 :: v_dual_mov_b32 v5, v2
.LBB18_8:                               ;   in Loop: Header=BB18_4 Depth=1
	s_or_b32 exec_lo, exec_lo, s1
	s_delay_alu instid0(VALU_DEP_1) | instskip(SKIP_1) | instid1(VALU_DEP_1)
	v_or_b32_e32 v3, s25, v5
                                        ; implicit-def: $vgpr6_vgpr7
	s_mov_b32 s1, exec_lo
	v_cmpx_ne_u64_e32 0, v[2:3]
	s_xor_b32 s37, exec_lo, s1
	s_cbranch_execz .LBB18_10
; %bb.9:                                ;   in Loop: Header=BB18_4 Depth=1
	s_ashr_i32 s40, s25, 31
	v_dual_mov_b32 v13, v2 :: v_dual_ashrrev_i32 v6, 31, v5
	s_mov_b32 s41, s40
	s_delay_alu instid0(SALU_CYCLE_1) | instskip(NEXT) | instid1(VALU_DEP_1)
	s_add_nc_u64 s[42:43], s[24:25], s[40:41]
	v_mov_b32_e32 v7, v6
	s_xor_b64 s[42:43], s[42:43], s[40:41]
	s_delay_alu instid0(SALU_CYCLE_1)
	s_cvt_f32_u32 s1, s42
	s_cvt_f32_u32 s2, s43
	s_sub_nc_u64 s[54:55], 0, s[42:43]
	v_add_nc_u64_e32 v[8:9], v[4:5], v[6:7]
	v_mov_b32_e32 v17, v2
	s_fmamk_f32 s1, s2, 0x4f800000, s1
	s_delay_alu instid0(SALU_CYCLE_3) | instskip(NEXT) | instid1(VALU_DEP_2)
	v_s_rcp_f32 s1, s1
	v_xor_b32_e32 v12, v8, v6
	s_delay_alu instid0(VALU_DEP_3) | instskip(SKIP_1) | instid1(TRANS32_DEP_1)
	v_dual_mov_b32 v21, v2 :: v_dual_bitop2_b32 v16, v9, v6 bitop3:0x14
	v_xor_b32_e32 v6, s40, v6
	s_mul_f32 s1, s1, 0x5f7ffffc
	s_delay_alu instid0(SALU_CYCLE_3) | instskip(NEXT) | instid1(SALU_CYCLE_3)
	s_mul_f32 s2, s1, 0x2f800000
	s_trunc_f32 s2, s2
	s_delay_alu instid0(SALU_CYCLE_3) | instskip(SKIP_1) | instid1(SALU_CYCLE_2)
	s_fmamk_f32 s1, s2, 0xcf800000, s1
	s_cvt_u32_f32 s53, s2
	s_cvt_u32_f32 s52, s1
	s_delay_alu instid0(SALU_CYCLE_3) | instskip(NEXT) | instid1(SALU_CYCLE_1)
	s_mul_u64 s[56:57], s[54:55], s[52:53]
	s_mul_hi_u32 s59, s52, s57
	s_mul_i32 s58, s52, s57
	s_mul_hi_u32 s2, s52, s56
	s_mul_i32 s41, s53, s56
	s_add_nc_u64 s[58:59], s[2:3], s[58:59]
	s_mul_hi_u32 s1, s53, s56
	s_mul_hi_u32 s60, s53, s57
	s_add_co_u32 s2, s58, s41
	s_add_co_ci_u32 s2, s59, s1
	s_mul_i32 s56, s53, s57
	s_add_co_ci_u32 s57, s60, 0
	s_delay_alu instid0(SALU_CYCLE_1) | instskip(NEXT) | instid1(SALU_CYCLE_1)
	s_add_nc_u64 s[56:57], s[2:3], s[56:57]
	s_add_co_u32 s52, s52, s56
	s_cselect_b32 s1, -1, 0
	s_delay_alu instid0(SALU_CYCLE_1) | instskip(SKIP_1) | instid1(SALU_CYCLE_1)
	s_cmp_lg_u32 s1, 0
	s_add_co_ci_u32 s53, s53, s57
	s_mul_u64 s[54:55], s[54:55], s[52:53]
	s_delay_alu instid0(SALU_CYCLE_1)
	s_mul_hi_u32 s57, s52, s55
	s_mul_i32 s56, s52, s55
	s_mul_hi_u32 s2, s52, s54
	s_mul_i32 s41, s53, s54
	s_add_nc_u64 s[56:57], s[2:3], s[56:57]
	s_mul_hi_u32 s1, s53, s54
	s_mul_hi_u32 s58, s53, s55
	s_add_co_u32 s2, s56, s41
	s_add_co_ci_u32 s2, s57, s1
	s_mul_i32 s54, s53, s55
	s_add_co_ci_u32 s55, s58, 0
	s_delay_alu instid0(SALU_CYCLE_1) | instskip(NEXT) | instid1(SALU_CYCLE_1)
	s_add_nc_u64 s[54:55], s[2:3], s[54:55]
	s_add_co_u32 s52, s52, s54
	s_cselect_b32 s1, -1, 0
	v_mul_hi_u32 v20, v12, s52
	s_cmp_lg_u32 s1, 0
	s_add_co_ci_u32 s2, s53, s55
	s_and_b64 s[54:55], s[52:53], s[34:35]
	v_mul_u64_e32 v[14:15], s[2:3], v[12:13]
	v_mul_u64_e32 v[8:9], s[54:55], v[16:17]
	;; [unrolled: 1-line block ×3, first 2 shown]
	s_delay_alu instid0(VALU_DEP_3) | instskip(NEXT) | instid1(VALU_DEP_1)
	v_add_nc_u64_e32 v[14:15], v[20:21], v[14:15]
	v_add_co_u32 v3, vcc_lo, v14, v8
	s_delay_alu instid0(VALU_DEP_2) | instskip(NEXT) | instid1(VALU_DEP_4)
	v_add_co_ci_u32_e32 v20, vcc_lo, v15, v9, vcc_lo
	v_add_co_ci_u32_e32 v19, vcc_lo, 0, v19, vcc_lo
	s_delay_alu instid0(VALU_DEP_1) | instskip(NEXT) | instid1(VALU_DEP_1)
	v_add_nc_u64_e32 v[8:9], v[20:21], v[18:19]
	v_mul_u64_e32 v[14:15], s[42:43], v[8:9]
	s_delay_alu instid0(VALU_DEP_1) | instskip(NEXT) | instid1(VALU_DEP_2)
	v_sub_nc_u32_e32 v3, v16, v15
	v_sub_co_u32 v5, vcc_lo, v12, v14
	s_delay_alu instid0(VALU_DEP_1) | instskip(NEXT) | instid1(VALU_DEP_3)
	v_sub_co_ci_u32_e64 v11, null, v16, v15, vcc_lo
	v_subrev_co_ci_u32_e64 v3, null, s43, v3, vcc_lo
	s_delay_alu instid0(VALU_DEP_3) | instskip(SKIP_1) | instid1(VALU_DEP_3)
	v_sub_co_u32 v7, s1, v5, s42
	v_add_nc_u64_e32 v[14:15], 1, v[8:9]
	v_subrev_co_ci_u32_e64 v3, null, 0, v3, s1
	s_delay_alu instid0(VALU_DEP_3) | instskip(SKIP_1) | instid1(VALU_DEP_3)
	v_cmp_le_u32_e32 vcc_lo, s42, v7
	v_cndmask_b32_e64 v7, 0, -1, vcc_lo
	v_cmp_le_u32_e32 vcc_lo, s43, v3
	v_cndmask_b32_e64 v12, 0, -1, vcc_lo
	;; [unrolled: 2-line block ×4, first 2 shown]
	v_cmp_eq_u32_e32 vcc_lo, s43, v3
	v_cndmask_b32_e32 v3, v12, v7, vcc_lo
	v_cmp_eq_u32_e32 vcc_lo, s43, v11
	v_add_nc_u64_e32 v[12:13], 2, v[8:9]
	v_dual_mov_b32 v7, v6 :: v_dual_cndmask_b32 v5, v16, v5, vcc_lo
	s_delay_alu instid0(VALU_DEP_4) | instskip(NEXT) | instid1(VALU_DEP_2)
	v_cmp_ne_u32_e32 vcc_lo, 0, v3
	v_cmp_ne_u32_e64 s1, 0, v5
	s_delay_alu instid0(VALU_DEP_4) | instskip(NEXT) | instid1(VALU_DEP_1)
	v_dual_cndmask_b32 v3, v15, v13, vcc_lo :: v_dual_cndmask_b32 v5, v14, v12, vcc_lo
	v_dual_cndmask_b32 v3, v9, v3, s1 :: v_dual_cndmask_b32 v5, v8, v5, s1
	s_delay_alu instid0(VALU_DEP_1) | instskip(NEXT) | instid1(VALU_DEP_2)
	v_xor_b32_e32 v9, v3, v6
	v_xor_b32_e32 v8, v5, v6
	s_delay_alu instid0(VALU_DEP_1)
	v_sub_nc_u64_e32 v[6:7], v[8:9], v[6:7]
.LBB18_10:                              ;   in Loop: Header=BB18_4 Depth=1
	s_and_not1_saveexec_b32 s1, s37
	s_cbranch_execz .LBB18_12
; %bb.11:                               ;   in Loop: Header=BB18_4 Depth=1
	v_cvt_f32_u32_e32 v3, s24
	s_sub_co_i32 s2, 0, s24
	s_delay_alu instid0(VALU_DEP_1) | instskip(SKIP_1) | instid1(TRANS32_DEP_1)
	v_rcp_iflag_f32_e32 v3, v3
	v_nop
	v_mul_f32_e32 v3, 0x4f7ffffe, v3
	s_delay_alu instid0(VALU_DEP_1) | instskip(NEXT) | instid1(VALU_DEP_1)
	v_cvt_u32_f32_e32 v3, v3
	v_mul_lo_u32 v5, s2, v3
	s_delay_alu instid0(VALU_DEP_1) | instskip(NEXT) | instid1(VALU_DEP_1)
	v_mul_hi_u32 v5, v3, v5
	v_add_nc_u32_e32 v3, v3, v5
	s_delay_alu instid0(VALU_DEP_1) | instskip(NEXT) | instid1(VALU_DEP_1)
	v_mul_hi_u32 v3, v4, v3
	v_mul_lo_u32 v5, v3, s24
	s_delay_alu instid0(VALU_DEP_1) | instskip(NEXT) | instid1(VALU_DEP_1)
	v_dual_add_nc_u32 v6, 1, v3 :: v_dual_sub_nc_u32 v5, v4, v5
	v_subrev_nc_u32_e32 v7, s24, v5
	v_cmp_le_u32_e32 vcc_lo, s24, v5
	s_delay_alu instid0(VALU_DEP_2) | instskip(NEXT) | instid1(VALU_DEP_4)
	v_dual_cndmask_b32 v5, v5, v7, vcc_lo :: v_dual_mov_b32 v7, v2
	v_cndmask_b32_e32 v3, v3, v6, vcc_lo
	s_delay_alu instid0(VALU_DEP_2) | instskip(NEXT) | instid1(VALU_DEP_2)
	v_cmp_le_u32_e32 vcc_lo, s24, v5
	v_add_nc_u32_e32 v6, 1, v3
	s_delay_alu instid0(VALU_DEP_1)
	v_cndmask_b32_e32 v6, v3, v6, vcc_lo
.LBB18_12:                              ;   in Loop: Header=BB18_4 Depth=1
	s_or_b32 exec_lo, exec_lo, s1
	s_delay_alu instid0(VALU_DEP_1) | instskip(SKIP_1) | instid1(VALU_DEP_1)
	v_or_b32_e32 v3, s11, v7
                                        ; implicit-def: $vgpr8_vgpr9
	s_mov_b32 s1, exec_lo
	v_cmpx_ne_u64_e32 0, v[2:3]
	s_xor_b32 s37, exec_lo, s1
	s_cbranch_execz .LBB18_14
; %bb.13:                               ;   in Loop: Header=BB18_4 Depth=1
	s_ashr_i32 s40, s11, 31
	v_dual_mov_b32 v15, v2 :: v_dual_ashrrev_i32 v8, 31, v7
	s_mov_b32 s41, s40
	v_mov_b32_e32 v19, v2
	s_add_nc_u64 s[42:43], s[10:11], s[40:41]
	s_delay_alu instid0(VALU_DEP_2)
	v_mov_b32_e32 v9, v8
	s_xor_b64 s[42:43], s[42:43], s[40:41]
	v_mov_b32_e32 v23, v2
	s_cvt_f32_u32 s1, s42
	s_cvt_f32_u32 s2, s43
	s_sub_nc_u64 s[54:55], 0, s[42:43]
	v_add_nc_u64_e32 v[12:13], v[6:7], v[8:9]
	s_delay_alu instid0(SALU_CYCLE_1) | instskip(NEXT) | instid1(SALU_CYCLE_3)
	s_fmamk_f32 s1, s2, 0x4f800000, s1
	v_s_rcp_f32 s1, s1
	s_delay_alu instid0(VALU_DEP_1) | instskip(NEXT) | instid1(VALU_DEP_2)
	v_xor_b32_e32 v14, v12, v8
	v_xor_b32_e32 v18, v13, v8
	s_delay_alu instid0(TRANS32_DEP_1) | instskip(NEXT) | instid1(SALU_CYCLE_3)
	s_mul_f32 s1, s1, 0x5f7ffffc
	s_mul_f32 s2, s1, 0x2f800000
	s_delay_alu instid0(SALU_CYCLE_3) | instskip(NEXT) | instid1(SALU_CYCLE_3)
	s_trunc_f32 s2, s2
	s_fmamk_f32 s1, s2, 0xcf800000, s1
	s_cvt_u32_f32 s53, s2
	s_delay_alu instid0(SALU_CYCLE_2) | instskip(NEXT) | instid1(SALU_CYCLE_3)
	s_cvt_u32_f32 s52, s1
	s_mul_u64 s[56:57], s[54:55], s[52:53]
	s_delay_alu instid0(SALU_CYCLE_1)
	s_mul_hi_u32 s59, s52, s57
	s_mul_i32 s58, s52, s57
	s_mul_hi_u32 s2, s52, s56
	s_mul_i32 s41, s53, s56
	s_add_nc_u64 s[58:59], s[2:3], s[58:59]
	s_mul_hi_u32 s1, s53, s56
	s_mul_hi_u32 s60, s53, s57
	s_add_co_u32 s2, s58, s41
	s_add_co_ci_u32 s2, s59, s1
	s_mul_i32 s56, s53, s57
	s_add_co_ci_u32 s57, s60, 0
	s_delay_alu instid0(SALU_CYCLE_1) | instskip(NEXT) | instid1(SALU_CYCLE_1)
	s_add_nc_u64 s[56:57], s[2:3], s[56:57]
	s_add_co_u32 s52, s52, s56
	s_cselect_b32 s1, -1, 0
	s_delay_alu instid0(SALU_CYCLE_1) | instskip(SKIP_1) | instid1(SALU_CYCLE_1)
	s_cmp_lg_u32 s1, 0
	s_add_co_ci_u32 s53, s53, s57
	s_mul_u64 s[54:55], s[54:55], s[52:53]
	s_delay_alu instid0(SALU_CYCLE_1)
	s_mul_hi_u32 s57, s52, s55
	s_mul_i32 s56, s52, s55
	s_mul_hi_u32 s2, s52, s54
	s_mul_i32 s41, s53, s54
	s_add_nc_u64 s[56:57], s[2:3], s[56:57]
	s_mul_hi_u32 s1, s53, s54
	s_mul_hi_u32 s58, s53, s55
	s_add_co_u32 s2, s56, s41
	s_add_co_ci_u32 s2, s57, s1
	s_mul_i32 s54, s53, s55
	s_add_co_ci_u32 s55, s58, 0
	s_delay_alu instid0(SALU_CYCLE_1) | instskip(NEXT) | instid1(SALU_CYCLE_1)
	s_add_nc_u64 s[54:55], s[2:3], s[54:55]
	s_add_co_u32 s52, s52, s54
	s_cselect_b32 s1, -1, 0
	v_mul_hi_u32 v22, v14, s52
	s_cmp_lg_u32 s1, 0
	s_add_co_ci_u32 s2, s53, s55
	s_and_b64 s[54:55], s[52:53], s[34:35]
	v_mul_u64_e32 v[16:17], s[2:3], v[14:15]
	v_mul_u64_e32 v[12:13], s[54:55], v[18:19]
	;; [unrolled: 1-line block ×3, first 2 shown]
	s_delay_alu instid0(VALU_DEP_3) | instskip(NEXT) | instid1(VALU_DEP_1)
	v_add_nc_u64_e32 v[16:17], v[22:23], v[16:17]
	v_add_co_u32 v3, vcc_lo, v16, v12
	s_delay_alu instid0(VALU_DEP_2) | instskip(NEXT) | instid1(VALU_DEP_4)
	v_add_co_ci_u32_e32 v22, vcc_lo, v17, v13, vcc_lo
	v_add_co_ci_u32_e32 v21, vcc_lo, 0, v21, vcc_lo
	s_delay_alu instid0(VALU_DEP_1) | instskip(NEXT) | instid1(VALU_DEP_1)
	v_add_nc_u64_e32 v[12:13], v[22:23], v[20:21]
	v_mul_u64_e32 v[16:17], s[42:43], v[12:13]
	s_delay_alu instid0(VALU_DEP_1) | instskip(SKIP_1) | instid1(VALU_DEP_3)
	v_sub_co_u32 v5, vcc_lo, v14, v16
	v_add_nc_u64_e32 v[14:15], 2, v[12:13]
	v_sub_nc_u32_e32 v3, v18, v17
	v_sub_co_ci_u32_e64 v9, null, v18, v17, vcc_lo
	s_delay_alu instid0(VALU_DEP_4) | instskip(NEXT) | instid1(VALU_DEP_3)
	v_sub_co_u32 v7, s1, v5, s42
	v_subrev_co_ci_u32_e64 v3, null, s43, v3, vcc_lo
	v_add_nc_u64_e32 v[16:17], 1, v[12:13]
	s_delay_alu instid0(VALU_DEP_3) | instskip(NEXT) | instid1(VALU_DEP_3)
	v_cmp_le_u32_e32 vcc_lo, s42, v7
	v_subrev_co_ci_u32_e64 v3, null, 0, v3, s1
	v_cndmask_b32_e64 v7, 0, -1, vcc_lo
	s_delay_alu instid0(VALU_DEP_2)
	v_cmp_le_u32_e32 vcc_lo, s43, v3
	v_cndmask_b32_e64 v11, 0, -1, vcc_lo
	v_cmp_le_u32_e32 vcc_lo, s42, v5
	v_cndmask_b32_e64 v5, 0, -1, vcc_lo
	;; [unrolled: 2-line block ×3, first 2 shown]
	v_cmp_eq_u32_e32 vcc_lo, s43, v3
	v_cndmask_b32_e32 v3, v11, v7, vcc_lo
	v_cmp_eq_u32_e32 vcc_lo, s43, v9
	s_delay_alu instid0(VALU_DEP_4) | instskip(NEXT) | instid1(VALU_DEP_3)
	v_cndmask_b32_e32 v5, v18, v5, vcc_lo
	v_cmp_ne_u32_e32 vcc_lo, 0, v3
	v_cndmask_b32_e32 v3, v17, v15, vcc_lo
	s_delay_alu instid0(VALU_DEP_3) | instskip(SKIP_1) | instid1(VALU_DEP_1)
	v_cmp_ne_u32_e64 s1, 0, v5
	v_dual_cndmask_b32 v5, v16, v14, vcc_lo :: v_dual_bitop2_b32 v8, s40, v8 bitop3:0x14
	v_dual_cndmask_b32 v3, v13, v3, s1 :: v_dual_cndmask_b32 v5, v12, v5, s1
	s_delay_alu instid0(VALU_DEP_1) | instskip(NEXT) | instid1(VALU_DEP_2)
	v_dual_mov_b32 v9, v8 :: v_dual_bitop2_b32 v13, v3, v8 bitop3:0x14
	v_xor_b32_e32 v12, v5, v8
	s_delay_alu instid0(VALU_DEP_1)
	v_sub_nc_u64_e32 v[8:9], v[12:13], v[8:9]
.LBB18_14:                              ;   in Loop: Header=BB18_4 Depth=1
	s_and_not1_saveexec_b32 s1, s37
	s_cbranch_execz .LBB18_16
; %bb.15:                               ;   in Loop: Header=BB18_4 Depth=1
	v_cvt_f32_u32_e32 v3, s10
	s_sub_co_i32 s2, 0, s10
	s_delay_alu instid0(VALU_DEP_1) | instskip(SKIP_1) | instid1(TRANS32_DEP_1)
	v_rcp_iflag_f32_e32 v3, v3
	v_nop
	v_mul_f32_e32 v3, 0x4f7ffffe, v3
	s_delay_alu instid0(VALU_DEP_1) | instskip(NEXT) | instid1(VALU_DEP_1)
	v_cvt_u32_f32_e32 v3, v3
	v_mul_lo_u32 v5, s2, v3
	s_delay_alu instid0(VALU_DEP_1) | instskip(NEXT) | instid1(VALU_DEP_1)
	v_mul_hi_u32 v5, v3, v5
	v_add_nc_u32_e32 v3, v3, v5
	s_delay_alu instid0(VALU_DEP_1) | instskip(NEXT) | instid1(VALU_DEP_1)
	v_mul_hi_u32 v3, v6, v3
	v_mul_lo_u32 v5, v3, s10
	s_delay_alu instid0(VALU_DEP_1) | instskip(NEXT) | instid1(VALU_DEP_1)
	v_sub_nc_u32_e32 v5, v6, v5
	v_subrev_nc_u32_e32 v8, s10, v5
	v_cmp_le_u32_e32 vcc_lo, s10, v5
	s_delay_alu instid0(VALU_DEP_2) | instskip(NEXT) | instid1(VALU_DEP_1)
	v_dual_add_nc_u32 v7, 1, v3 :: v_dual_cndmask_b32 v5, v5, v8, vcc_lo
	v_cndmask_b32_e32 v3, v3, v7, vcc_lo
	s_delay_alu instid0(VALU_DEP_2) | instskip(NEXT) | instid1(VALU_DEP_2)
	v_cmp_le_u32_e32 vcc_lo, s10, v5
	v_add_nc_u32_e32 v7, 1, v3
	s_delay_alu instid0(VALU_DEP_1)
	v_cndmask_b32_e32 v8, v3, v7, vcc_lo
.LBB18_16:                              ;   in Loop: Header=BB18_4 Depth=1
	s_or_b32 exec_lo, exec_lo, s1
	s_delay_alu instid0(VALU_DEP_1) | instskip(SKIP_2) | instid1(VALU_DEP_2)
	v_mul_lo_u32 v3, v8, s10
	v_mov_b32_e32 v11, 0
	s_mov_b32 s1, exec_lo
	v_dual_mov_b32 v7, 0 :: v_dual_sub_nc_u32 v5, v6, v3
	s_delay_alu instid0(VALU_DEP_1)
	v_cmpx_le_i32_e64 s14, v5
	s_cbranch_execz .LBB18_18
; %bb.17:                               ;   in Loop: Header=BB18_4 Depth=1
	v_subrev_nc_u32_e32 v12, s14, v5
	v_mov_b32_e32 v13, v2
	s_delay_alu instid0(VALU_DEP_1) | instskip(NEXT) | instid1(VALU_DEP_1)
	v_mul_u64_e32 v[14:15], s[28:29], v[12:13]
	v_mul_lo_u32 v3, v15, s33
	v_add_nc_u32_e32 v9, 1, v15
	s_delay_alu instid0(VALU_DEP_2) | instskip(NEXT) | instid1(VALU_DEP_1)
	v_sub_nc_u32_e32 v3, v12, v3
	v_subrev_nc_u32_e32 v11, s33, v3
	v_cmp_le_u32_e32 vcc_lo, s33, v3
	s_delay_alu instid0(VALU_DEP_4) | instskip(NEXT) | instid1(VALU_DEP_1)
	v_cndmask_b32_e32 v9, v15, v9, vcc_lo
	v_dual_cndmask_b32 v3, v3, v11, vcc_lo :: v_dual_add_nc_u32 v11, 1, v9
	s_delay_alu instid0(VALU_DEP_1) | instskip(NEXT) | instid1(VALU_DEP_2)
	v_cmp_le_u32_e32 vcc_lo, s33, v3
	v_cndmask_b32_e32 v3, v9, v11, vcc_lo
	s_delay_alu instid0(VALU_DEP_1) | instskip(NEXT) | instid1(VALU_DEP_1)
	v_xor_b32_e32 v3, s47, v3
	v_subrev_nc_u32_e32 v3, s47, v3
	s_delay_alu instid0(VALU_DEP_1)
	v_add_nc_u32_e32 v11, 1, v3
.LBB18_18:                              ;   in Loop: Header=BB18_4 Depth=1
	s_or_b32 exec_lo, exec_lo, s1
	v_mul_lo_u32 v3, v6, s24
	s_mov_b32 s1, exec_lo
	s_delay_alu instid0(VALU_DEP_1) | instskip(NEXT) | instid1(VALU_DEP_1)
	v_sub_nc_u32_e32 v3, v4, v3
	v_cmpx_le_i32_e64 s15, v3
	s_cbranch_execz .LBB18_20
; %bb.19:                               ;   in Loop: Header=BB18_4 Depth=1
	v_subrev_nc_u32_e32 v6, s15, v3
	v_mov_b32_e32 v7, v2
	s_delay_alu instid0(VALU_DEP_1) | instskip(NEXT) | instid1(VALU_DEP_1)
	v_mul_u64_e32 v[12:13], s[30:31], v[6:7]
	v_mul_lo_u32 v7, v13, s44
	s_delay_alu instid0(VALU_DEP_1) | instskip(NEXT) | instid1(VALU_DEP_1)
	v_dual_sub_nc_u32 v6, v6, v7 :: v_dual_add_nc_u32 v7, 1, v13
	v_subrev_nc_u32_e32 v9, s44, v6
	v_cmp_le_u32_e32 vcc_lo, s44, v6
	s_delay_alu instid0(VALU_DEP_2) | instskip(NEXT) | instid1(VALU_DEP_1)
	v_dual_cndmask_b32 v7, v13, v7 :: v_dual_cndmask_b32 v6, v6, v9
	v_add_nc_u32_e32 v9, 1, v7
	s_delay_alu instid0(VALU_DEP_2) | instskip(NEXT) | instid1(VALU_DEP_2)
	v_cmp_le_u32_e32 vcc_lo, s44, v6
	v_cndmask_b32_e32 v6, v7, v9, vcc_lo
	s_delay_alu instid0(VALU_DEP_1) | instskip(NEXT) | instid1(VALU_DEP_1)
	v_xor_b32_e32 v6, s48, v6
	v_subrev_nc_u32_e32 v6, s48, v6
	s_delay_alu instid0(VALU_DEP_1)
	v_add_nc_u32_e32 v7, 1, v6
.LBB18_20:                              ;   in Loop: Header=BB18_4 Depth=1
	s_or_b32 exec_lo, exec_lo, s1
	v_dual_mov_b32 v13, v2 :: v_dual_sub_nc_u32 v6, 0, v5
	s_mov_b32 s37, exec_lo
	s_delay_alu instid0(VALU_DEP_1) | instskip(NEXT) | instid1(VALU_DEP_1)
	v_max_i32_e32 v12, v5, v6
	v_mul_u64_e32 v[14:15], s[28:29], v[12:13]
	s_delay_alu instid0(VALU_DEP_1) | instskip(NEXT) | instid1(VALU_DEP_1)
	v_mul_lo_u32 v6, v15, s33
	v_dual_add_nc_u32 v9, 1, v15 :: v_dual_sub_nc_u32 v6, v12, v6
	s_delay_alu instid0(VALU_DEP_1) | instskip(NEXT) | instid1(VALU_DEP_2)
	v_cmp_le_u32_e32 vcc_lo, s33, v6
	v_cndmask_b32_e32 v9, v15, v9, vcc_lo
	v_subrev_nc_u32_e32 v12, s33, v6
	s_delay_alu instid0(VALU_DEP_1) | instskip(NEXT) | instid1(VALU_DEP_3)
	v_dual_cndmask_b32 v6, v6, v12 :: v_dual_ashrrev_i32 v5, 31, v5
	v_add_nc_u32_e32 v12, 1, v9
	s_delay_alu instid0(VALU_DEP_2) | instskip(NEXT) | instid1(VALU_DEP_2)
	v_cmp_le_u32_e32 vcc_lo, s33, v6
	v_dual_cndmask_b32 v6, v9, v12, vcc_lo :: v_dual_bitop2_b32 v5, s47, v5 bitop3:0x14
	s_delay_alu instid0(VALU_DEP_1) | instskip(NEXT) | instid1(VALU_DEP_1)
	v_xor_b32_e32 v6, v6, v5
	v_sub_nc_u32_e32 v5, v6, v5
	s_delay_alu instid0(VALU_DEP_1) | instskip(SKIP_1) | instid1(VALU_DEP_2)
	v_add_min_i32_e64 v6, v5, 1, s12
	v_mov_b32_e32 v5, 0
	v_cmpx_lt_i32_e64 v11, v6
	s_cbranch_execz .LBB18_3
; %bb.21:                               ;   in Loop: Header=BB18_4 Depth=1
	v_dual_sub_nc_u32 v5, 0, v3 :: v_dual_mov_b32 v13, v2
	v_mul_lo_u32 v4, v4, s8
	s_mov_b32 s40, 0
	s_delay_alu instid0(VALU_DEP_2) | instskip(SKIP_1) | instid1(VALU_DEP_2)
	v_dual_ashrrev_i32 v9, 31, v8 :: v_dual_max_i32 v12, v3, v5
	v_ashrrev_i32_e32 v3, 31, v3
	v_mul_u64_e32 v[8:9], s[38:39], v[8:9]
	s_delay_alu instid0(VALU_DEP_3) | instskip(NEXT) | instid1(VALU_DEP_1)
	v_mul_u64_e32 v[14:15], s[30:31], v[12:13]
	v_mul_lo_u32 v5, v15, s44
	s_delay_alu instid0(VALU_DEP_1) | instskip(NEXT) | instid1(VALU_DEP_1)
	v_dual_sub_nc_u32 v5, v12, v5 :: v_dual_add_nc_u32 v12, 1, v15
	v_subrev_nc_u32_e32 v13, s44, v5
	v_cmp_le_u32_e32 vcc_lo, s44, v5
	s_delay_alu instid0(VALU_DEP_2) | instskip(NEXT) | instid1(VALU_DEP_1)
	v_dual_cndmask_b32 v12, v15, v12 :: v_dual_cndmask_b32 v5, v5, v13
	v_add_nc_u32_e32 v13, 1, v12
	s_delay_alu instid0(VALU_DEP_2) | instskip(NEXT) | instid1(VALU_DEP_2)
	v_cmp_le_u32_e32 vcc_lo, s44, v5
	v_dual_cndmask_b32 v3, v12, v13, vcc_lo :: v_dual_bitop2_b32 v14, s48, v3 bitop3:0x14
	v_mul_lo_u32 v13, s17, v7
	s_delay_alu instid0(VALU_DEP_2) | instskip(NEXT) | instid1(VALU_DEP_1)
	v_dual_sub_nc_u32 v3, v0, v4 :: v_dual_bitop2_b32 v5, v3, v14 bitop3:0x14
	v_sub_nc_u32_e32 v12, v5, v14
	s_delay_alu instid0(VALU_DEP_2)
	v_ashrrev_i64 v[4:5], 31, v[2:3]
	v_lshl_add_u64 v[14:15], v[8:9], 1, s[6:7]
	v_mul_lo_u32 v3, s13, v11
	v_add_nc_u32_e32 v9, s49, v13
	v_add_min_i32_e64 v8, v12, 1, s13
	v_dual_add_nc_u32 v12, s50, v13 :: v_dual_sub_nc_u32 v13, s19, v13
	v_add_nc_u64_e32 v[4:5], v[14:15], v[4:5]
	v_mov_b32_e32 v14, 0
	s_delay_alu instid0(VALU_DEP_4)
	v_cmp_lt_i32_e32 vcc_lo, v7, v8
	s_branch .LBB18_24
.LBB18_22:                              ;   in Loop: Header=BB18_24 Depth=2
	s_or_b32 exec_lo, exec_lo, s42
.LBB18_23:                              ;   in Loop: Header=BB18_24 Depth=2
	s_delay_alu instid0(SALU_CYCLE_1) | instskip(SKIP_2) | instid1(VALU_DEP_2)
	s_or_b32 exec_lo, exec_lo, s41
	v_add_nc_u32_e32 v11, 1, v11
	v_add_nc_u32_e32 v3, s13, v3
	v_cmp_ge_i32_e64 s1, v11, v6
	s_or_b32 s40, s1, s40
	s_delay_alu instid0(SALU_CYCLE_1)
	s_and_not1_b32 exec_lo, exec_lo, s40
	s_cbranch_execz .LBB18_2
.LBB18_24:                              ;   Parent Loop BB18_4 Depth=1
                                        ; =>  This Loop Header: Depth=2
                                        ;       Child Loop BB18_27 Depth 3
	s_and_saveexec_b32 s41, vcc_lo
	s_cbranch_execz .LBB18_23
; %bb.25:                               ;   in Loop: Header=BB18_24 Depth=2
	v_mul_lo_u32 v15, v11, s16
	s_mov_b32 s42, 0
	v_mov_b32_e32 v16, v12
	s_delay_alu instid0(VALU_DEP_2) | instskip(NEXT) | instid1(VALU_DEP_1)
	v_subrev_nc_u32_e32 v18, s18, v15
	v_dual_mov_b32 v15, v13 :: v_dual_max_i32 v20, 0, v18
	v_add_min_i32_e64 v19, v18, s14, s45
	s_delay_alu instid0(VALU_DEP_1) | instskip(SKIP_1) | instid1(VALU_DEP_1)
	v_dual_mov_b32 v17, v9 :: v_dual_sub_nc_u32 v18, v19, v18
	v_min_i32_e32 v21, s10, v19
	v_cmp_gt_i32_e64 s1, v21, v20
	v_dual_mov_b32 v20, v7 :: v_dual_sub_nc_u32 v19, v21, v20
	s_branch .LBB18_27
.LBB18_26:                              ;   in Loop: Header=BB18_27 Depth=3
	s_or_b32 exec_lo, exec_lo, s2
	v_dual_add_nc_u32 v20, 1, v20 :: v_dual_add_nc_u32 v17, s17, v17
	v_add_nc_u32_e32 v16, s17, v16
	v_subrev_nc_u32_e32 v15, s17, v15
	s_delay_alu instid0(VALU_DEP_3) | instskip(SKIP_1) | instid1(SALU_CYCLE_1)
	v_cmp_ge_i32_e64 s2, v20, v8
	s_or_b32 s42, s2, s42
	s_and_not1_b32 exec_lo, exec_lo, s42
	s_cbranch_execz .LBB18_22
.LBB18_27:                              ;   Parent Loop BB18_4 Depth=1
                                        ;     Parent Loop BB18_24 Depth=2
                                        ; =>    This Inner Loop Header: Depth=3
	v_dual_add_nc_u32 v22, s15, v17 :: v_dual_max_i32 v21, 0, v17
	s_delay_alu instid0(VALU_DEP_1) | instskip(NEXT) | instid1(VALU_DEP_1)
	v_min3_i32 v22, v22, s46, s24
	v_cmp_gt_i32_e64 s2, v22, v21
	s_and_b32 s43, s1, s2
	s_delay_alu instid0(SALU_CYCLE_1)
	s_and_saveexec_b32 s2, s43
	s_cbranch_execz .LBB18_26
; %bb.28:                               ;   in Loop: Header=BB18_27 Depth=3
	v_dual_add_nc_u32 v24, v3, v20 :: v_dual_sub_nc_u32 v21, v22, v21
	s_delay_alu instid0(VALU_DEP_1) | instskip(NEXT) | instid1(VALU_DEP_2)
	v_ashrrev_i32_e32 v25, 31, v24
	v_mul_lo_u32 v21, v21, v19
	s_delay_alu instid0(VALU_DEP_2) | instskip(NEXT) | instid1(VALU_DEP_1)
	v_mul_u64_e32 v[24:25], s[8:9], v[24:25]
	v_lshl_add_u64 v[24:25], v[24:25], 1, v[4:5]
	global_load_u16 v23, v[24:25], off
	s_wait_xcnt 0x0
	v_min_i32_e32 v24, s46, v16
	s_delay_alu instid0(VALU_DEP_1) | instskip(NEXT) | instid1(VALU_DEP_1)
	v_add_nc_u32_e32 v24, v24, v15
	v_mul_lo_u32 v22, v24, v18
	s_delay_alu instid0(VALU_DEP_1) | instskip(NEXT) | instid1(VALU_DEP_1)
	v_cndmask_b32_e64 v21, v21, v22, s0
	v_cndmask_b32_e64 v21, v21, s22, s23
	s_delay_alu instid0(VALU_DEP_1) | instskip(NEXT) | instid1(VALU_DEP_1)
	v_cvt_f32_i32_e32 v21, v21
	v_cvt_f16_f32_e32 v21, v21
	s_delay_alu instid0(VALU_DEP_1) | instskip(NEXT) | instid1(VALU_DEP_1)
	v_cvt_f32_f16_e32 v22, v21
	v_rcp_f32_e32 v22, v22
	s_wait_loadcnt 0x0
	v_cvt_f32_f16_e32 v24, v23
	s_delay_alu instid0(TRANS32_DEP_1) | instid1(VALU_DEP_1)
	v_mul_f32_e32 v24, v24, v22
	s_delay_alu instid0(VALU_DEP_1) | instskip(NEXT) | instid1(VALU_DEP_1)
	v_fma_mix_f32 v25, -v21, v24, v23 op_sel_hi:[1,0,1]
	v_fmac_f32_e32 v24, v25, v22
	s_delay_alu instid0(VALU_DEP_1) | instskip(NEXT) | instid1(VALU_DEP_1)
	v_fma_mix_f32 v25, -v21, v24, v23 op_sel_hi:[1,0,1]
	v_mul_f32_e32 v22, v25, v22
	s_delay_alu instid0(VALU_DEP_1) | instskip(NEXT) | instid1(VALU_DEP_1)
	v_and_b32_e32 v22, 0xff800000, v22
	v_add_f32_e32 v22, v22, v24
	s_delay_alu instid0(VALU_DEP_1) | instskip(NEXT) | instid1(VALU_DEP_1)
	v_cvt_f16_f32_e32 v22, v22
	v_div_fixup_f16 v21, v22, v21, v23
	s_delay_alu instid0(VALU_DEP_1) | instskip(NEXT) | instid1(VALU_DEP_1)
	v_cvt_f32_f16_e32 v21, v21
	v_add_f32_e32 v14, v14, v21
	s_branch .LBB18_26
.LBB18_29:
	s_endpgm
	.section	.rodata,"a",@progbits
	.p2align	6, 0x0
	.amdhsa_kernel _ZN2at6native12_GLOBAL__N_139avg_pool2d_backward_out_cuda_frame_nhwcIN3c104HalfEflEEvT1_PKT_llliiiiiiiiPS6_ibb
		.amdhsa_group_segment_fixed_size 0
		.amdhsa_private_segment_fixed_size 0
		.amdhsa_kernarg_size 344
		.amdhsa_user_sgpr_count 2
		.amdhsa_user_sgpr_dispatch_ptr 0
		.amdhsa_user_sgpr_queue_ptr 0
		.amdhsa_user_sgpr_kernarg_segment_ptr 1
		.amdhsa_user_sgpr_dispatch_id 0
		.amdhsa_user_sgpr_kernarg_preload_length 0
		.amdhsa_user_sgpr_kernarg_preload_offset 0
		.amdhsa_user_sgpr_private_segment_size 0
		.amdhsa_wavefront_size32 1
		.amdhsa_uses_dynamic_stack 0
		.amdhsa_enable_private_segment 0
		.amdhsa_system_sgpr_workgroup_id_x 1
		.amdhsa_system_sgpr_workgroup_id_y 0
		.amdhsa_system_sgpr_workgroup_id_z 0
		.amdhsa_system_sgpr_workgroup_info 0
		.amdhsa_system_vgpr_workitem_id 0
		.amdhsa_next_free_vgpr 26
		.amdhsa_next_free_sgpr 61
		.amdhsa_named_barrier_count 0
		.amdhsa_reserve_vcc 1
		.amdhsa_float_round_mode_32 0
		.amdhsa_float_round_mode_16_64 0
		.amdhsa_float_denorm_mode_32 3
		.amdhsa_float_denorm_mode_16_64 3
		.amdhsa_fp16_overflow 0
		.amdhsa_memory_ordered 1
		.amdhsa_forward_progress 1
		.amdhsa_inst_pref_size 29
		.amdhsa_round_robin_scheduling 0
		.amdhsa_exception_fp_ieee_invalid_op 0
		.amdhsa_exception_fp_denorm_src 0
		.amdhsa_exception_fp_ieee_div_zero 0
		.amdhsa_exception_fp_ieee_overflow 0
		.amdhsa_exception_fp_ieee_underflow 0
		.amdhsa_exception_fp_ieee_inexact 0
		.amdhsa_exception_int_div_zero 0
	.end_amdhsa_kernel
	.section	.text._ZN2at6native12_GLOBAL__N_139avg_pool2d_backward_out_cuda_frame_nhwcIN3c104HalfEflEEvT1_PKT_llliiiiiiiiPS6_ibb,"axG",@progbits,_ZN2at6native12_GLOBAL__N_139avg_pool2d_backward_out_cuda_frame_nhwcIN3c104HalfEflEEvT1_PKT_llliiiiiiiiPS6_ibb,comdat
.Lfunc_end18:
	.size	_ZN2at6native12_GLOBAL__N_139avg_pool2d_backward_out_cuda_frame_nhwcIN3c104HalfEflEEvT1_PKT_llliiiiiiiiPS6_ibb, .Lfunc_end18-_ZN2at6native12_GLOBAL__N_139avg_pool2d_backward_out_cuda_frame_nhwcIN3c104HalfEflEEvT1_PKT_llliiiiiiiiPS6_ibb
                                        ; -- End function
	.set _ZN2at6native12_GLOBAL__N_139avg_pool2d_backward_out_cuda_frame_nhwcIN3c104HalfEflEEvT1_PKT_llliiiiiiiiPS6_ibb.num_vgpr, 26
	.set _ZN2at6native12_GLOBAL__N_139avg_pool2d_backward_out_cuda_frame_nhwcIN3c104HalfEflEEvT1_PKT_llliiiiiiiiPS6_ibb.num_agpr, 0
	.set _ZN2at6native12_GLOBAL__N_139avg_pool2d_backward_out_cuda_frame_nhwcIN3c104HalfEflEEvT1_PKT_llliiiiiiiiPS6_ibb.numbered_sgpr, 61
	.set _ZN2at6native12_GLOBAL__N_139avg_pool2d_backward_out_cuda_frame_nhwcIN3c104HalfEflEEvT1_PKT_llliiiiiiiiPS6_ibb.num_named_barrier, 0
	.set _ZN2at6native12_GLOBAL__N_139avg_pool2d_backward_out_cuda_frame_nhwcIN3c104HalfEflEEvT1_PKT_llliiiiiiiiPS6_ibb.private_seg_size, 0
	.set _ZN2at6native12_GLOBAL__N_139avg_pool2d_backward_out_cuda_frame_nhwcIN3c104HalfEflEEvT1_PKT_llliiiiiiiiPS6_ibb.uses_vcc, 1
	.set _ZN2at6native12_GLOBAL__N_139avg_pool2d_backward_out_cuda_frame_nhwcIN3c104HalfEflEEvT1_PKT_llliiiiiiiiPS6_ibb.uses_flat_scratch, 0
	.set _ZN2at6native12_GLOBAL__N_139avg_pool2d_backward_out_cuda_frame_nhwcIN3c104HalfEflEEvT1_PKT_llliiiiiiiiPS6_ibb.has_dyn_sized_stack, 0
	.set _ZN2at6native12_GLOBAL__N_139avg_pool2d_backward_out_cuda_frame_nhwcIN3c104HalfEflEEvT1_PKT_llliiiiiiiiPS6_ibb.has_recursion, 0
	.set _ZN2at6native12_GLOBAL__N_139avg_pool2d_backward_out_cuda_frame_nhwcIN3c104HalfEflEEvT1_PKT_llliiiiiiiiPS6_ibb.has_indirect_call, 0
	.section	.AMDGPU.csdata,"",@progbits
; Kernel info:
; codeLenInByte = 3712
; TotalNumSgprs: 63
; NumVgprs: 26
; ScratchSize: 0
; MemoryBound: 0
; FloatMode: 240
; IeeeMode: 1
; LDSByteSize: 0 bytes/workgroup (compile time only)
; SGPRBlocks: 0
; VGPRBlocks: 1
; NumSGPRsForWavesPerEU: 63
; NumVGPRsForWavesPerEU: 26
; NamedBarCnt: 0
; Occupancy: 16
; WaveLimiterHint : 0
; COMPUTE_PGM_RSRC2:SCRATCH_EN: 0
; COMPUTE_PGM_RSRC2:USER_SGPR: 2
; COMPUTE_PGM_RSRC2:TRAP_HANDLER: 0
; COMPUTE_PGM_RSRC2:TGID_X_EN: 1
; COMPUTE_PGM_RSRC2:TGID_Y_EN: 0
; COMPUTE_PGM_RSRC2:TGID_Z_EN: 0
; COMPUTE_PGM_RSRC2:TIDIG_COMP_CNT: 0
	.section	.text._ZN2at6native12_GLOBAL__N_134avg_pool2d_backward_out_cuda_frameIN3c104HalfEflEEvT1_PKT_llllliiiiiiPS6_ibb,"axG",@progbits,_ZN2at6native12_GLOBAL__N_134avg_pool2d_backward_out_cuda_frameIN3c104HalfEflEEvT1_PKT_llllliiiiiiPS6_ibb,comdat
	.globl	_ZN2at6native12_GLOBAL__N_134avg_pool2d_backward_out_cuda_frameIN3c104HalfEflEEvT1_PKT_llllliiiiiiPS6_ibb ; -- Begin function _ZN2at6native12_GLOBAL__N_134avg_pool2d_backward_out_cuda_frameIN3c104HalfEflEEvT1_PKT_llllliiiiiiPS6_ibb
	.p2align	8
	.type	_ZN2at6native12_GLOBAL__N_134avg_pool2d_backward_out_cuda_frameIN3c104HalfEflEEvT1_PKT_llllliiiiiiPS6_ibb,@function
_ZN2at6native12_GLOBAL__N_134avg_pool2d_backward_out_cuda_frameIN3c104HalfEflEEvT1_PKT_llllliiiiiiPS6_ibb: ; @_ZN2at6native12_GLOBAL__N_134avg_pool2d_backward_out_cuda_frameIN3c104HalfEflEEvT1_PKT_llllliiiiiiPS6_ibb
; %bb.0:
	s_load_b32 s2, s[0:1], 0x6c
	s_bfe_u32 s4, ttmp6, 0x4000c
	v_mov_b32_e32 v2, 0
	s_add_co_i32 s13, s4, 1
	s_load_b256 s[4:11], s[0:1], 0x0
	s_and_b32 s3, ttmp6, 15
	s_mul_i32 s13, ttmp9, s13
	s_getreg_b32 s12, hwreg(HW_REG_IB_STS2, 6, 4)
	v_mov_b32_e32 v1, v2
	s_add_co_i32 s3, s3, s13
	s_wait_kmcnt 0x0
	s_and_b32 s2, s2, 0xffff
	s_cmp_eq_u32 s12, 0
	s_mov_b32 s12, exec_lo
	s_cselect_b32 s3, ttmp9, s3
	s_delay_alu instid0(SALU_CYCLE_1) | instskip(SKIP_1) | instid1(VALU_DEP_1)
	v_mad_nc_u64_u32 v[0:1], s2, s3, v[0:1]
	s_mov_b32 s3, 0
	v_cmpx_gt_i64_e64 s[4:5], v[0:1]
	s_cbranch_execz .LBB19_29
; %bb.1:
	s_clause 0x1
	s_load_b64 s[28:29], s[0:1], 0x58
	s_load_b256 s[12:19], s[0:1], 0x20
	s_wait_kmcnt 0x0
	s_add_nc_u64 s[18:19], s[0:1], 0x60
	s_load_b32 s30, s[0:1], 0x5c
	s_load_b32 s33, s[18:19], 0x0
	s_load_b256 s[20:27], s[0:1], 0x38
	s_wait_xcnt 0x0
	s_mov_b32 s19, s3
	s_mov_b32 s31, s3
	;; [unrolled: 1-line block ×3, first 2 shown]
	s_mov_b64 s[36:37], 0xffffffff
	s_mov_b32 s54, 0
	s_bitcmp1_b32 s29, 0
	v_cvt_f32_u32_e32 v3, s12
	s_cselect_b32 s0, -1, 0
	s_wait_kmcnt 0x0
	s_bitcmp1_b32 s30, 8
	s_mul_i32 s18, s33, s2
	s_cselect_b32 s29, -1, 0
	s_abs_i32 s33, s22
	s_abs_i32 s48, s23
	s_cvt_f32_u32 s1, s33
	s_cvt_f32_u32 s2, s48
	v_rcp_iflag_f32_e32 v3, v3
	s_sub_co_i32 s30, 0, s33
	v_rcp_iflag_f32_e32 v4, s1
	v_rcp_iflag_f32_e32 v5, s2
	s_sub_co_i32 s34, 0, s48
	s_add_co_i32 s49, s24, s10
	s_add_co_i32 s50, s25, s12
	v_mul_f32_e32 v3, 0x4f7ffffe, v3
	s_ashr_i32 s51, s22, 31
	v_readfirstlane_b32 s1, v4
	v_readfirstlane_b32 s2, v5
	s_ashr_i32 s52, s23, 31
	v_cvt_u32_f32_e32 v14, v3
	s_lshl_b64 s[38:39], s[14:15], 1
	s_mul_f32 s1, s1, 0x4f7ffffe
	s_mul_f32 s2, s2, 0x4f7ffffe
	s_lshl_b64 s[40:41], s[16:17], 1
	s_sub_co_i32 s15, 0, s25
	s_cvt_u32_f32 s1, s1
	s_cvt_u32_f32 s2, s2
	s_sub_co_i32 s53, s21, s25
	s_ashr_i32 s42, s13, 31
	s_mul_i32 s30, s30, s1
	s_mul_i32 s34, s34, s2
	s_mul_hi_u32 s30, s1, s30
	s_mul_hi_u32 s34, s2, s34
	s_add_co_i32 s30, s1, s30
	s_add_co_i32 s34, s2, s34
	s_branch .LBB19_4
.LBB19_2:                               ;   in Loop: Header=BB19_4 Depth=1
	s_or_b32 exec_lo, exec_lo, s44
	v_cvt_f16_f32_e32 v5, v15
.LBB19_3:                               ;   in Loop: Header=BB19_4 Depth=1
	s_or_b32 exec_lo, exec_lo, s43
	v_lshl_add_u64 v[6:7], v[0:1], 1, s[26:27]
	v_add_nc_u64_e32 v[0:1], s[18:19], v[0:1]
	global_store_b16 v[6:7], v5, off
	v_cmp_le_i64_e32 vcc_lo, s[4:5], v[0:1]
	s_or_b32 s54, vcc_lo, s54
	s_wait_xcnt 0x0
	s_and_not1_b32 exec_lo, exec_lo, s54
	s_cbranch_execz .LBB19_29
.LBB19_4:                               ; =>This Loop Header: Depth=1
                                        ;     Child Loop BB19_24 Depth 2
                                        ;       Child Loop BB19_27 Depth 3
	v_or_b32_e32 v3, s13, v1
                                        ; implicit-def: $vgpr4_vgpr5
	s_mov_b32 s1, exec_lo
	s_delay_alu instid0(VALU_DEP_1)
	v_cmpx_ne_u64_e32 0, v[2:3]
	s_xor_b32 s46, exec_lo, s1
	s_cbranch_execz .LBB19_6
; %bb.5:                                ;   in Loop: Header=BB19_4 Depth=1
	s_mov_b32 s43, s42
	v_dual_mov_b32 v9, v2 :: v_dual_ashrrev_i32 v4, 31, v1
	s_add_nc_u64 s[44:45], s[12:13], s[42:43]
	s_delay_alu instid0(SALU_CYCLE_1) | instskip(NEXT) | instid1(VALU_DEP_1)
	s_xor_b64 s[44:45], s[44:45], s[42:43]
	v_mov_b32_e32 v5, v4
	s_cvt_f32_u32 s1, s44
	s_cvt_f32_u32 s2, s45
	s_sub_nc_u64 s[58:59], 0, s[44:45]
	s_delay_alu instid0(VALU_DEP_1) | instskip(NEXT) | instid1(SALU_CYCLE_1)
	v_add_nc_u64_e32 v[6:7], v[0:1], v[4:5]
	s_fmamk_f32 s1, s2, 0x4f800000, s1
	v_mov_b32_e32 v13, v2
	s_delay_alu instid0(SALU_CYCLE_2) | instskip(NEXT) | instid1(VALU_DEP_2)
	v_s_rcp_f32 s1, s1
	v_xor_b32_e32 v8, v6, v4
	s_delay_alu instid0(VALU_DEP_3) | instskip(SKIP_1) | instid1(TRANS32_DEP_1)
	v_dual_mov_b32 v19, v2 :: v_dual_bitop2_b32 v12, v7, v4 bitop3:0x14
	v_xor_b32_e32 v4, s42, v4
	s_mul_f32 s1, s1, 0x5f7ffffc
	s_delay_alu instid0(SALU_CYCLE_3) | instskip(NEXT) | instid1(SALU_CYCLE_3)
	s_mul_f32 s2, s1, 0x2f800000
	s_trunc_f32 s2, s2
	s_delay_alu instid0(SALU_CYCLE_3) | instskip(SKIP_1) | instid1(SALU_CYCLE_2)
	s_fmamk_f32 s1, s2, 0xcf800000, s1
	s_cvt_u32_f32 s57, s2
	s_cvt_u32_f32 s56, s1
	s_delay_alu instid0(SALU_CYCLE_3) | instskip(NEXT) | instid1(SALU_CYCLE_1)
	s_mul_u64 s[60:61], s[58:59], s[56:57]
	s_mul_hi_u32 s63, s56, s61
	s_mul_i32 s62, s56, s61
	s_mul_hi_u32 s2, s56, s60
	s_mul_i32 s43, s57, s60
	s_add_nc_u64 s[62:63], s[2:3], s[62:63]
	s_mul_hi_u32 s1, s57, s60
	s_mul_hi_u32 s47, s57, s61
	s_add_co_u32 s2, s62, s43
	s_add_co_ci_u32 s2, s63, s1
	s_mul_i32 s60, s57, s61
	s_add_co_ci_u32 s61, s47, 0
	s_delay_alu instid0(SALU_CYCLE_1) | instskip(NEXT) | instid1(SALU_CYCLE_1)
	s_add_nc_u64 s[60:61], s[2:3], s[60:61]
	s_add_co_u32 s56, s56, s60
	s_cselect_b32 s1, -1, 0
	s_delay_alu instid0(SALU_CYCLE_1) | instskip(SKIP_1) | instid1(SALU_CYCLE_1)
	s_cmp_lg_u32 s1, 0
	s_add_co_ci_u32 s57, s57, s61
	s_mul_u64 s[58:59], s[58:59], s[56:57]
	s_delay_alu instid0(SALU_CYCLE_1)
	s_mul_hi_u32 s61, s56, s59
	s_mul_i32 s60, s56, s59
	s_mul_hi_u32 s2, s56, s58
	s_mul_i32 s43, s57, s58
	s_add_nc_u64 s[60:61], s[2:3], s[60:61]
	s_mul_hi_u32 s1, s57, s58
	s_mul_hi_u32 s47, s57, s59
	s_add_co_u32 s2, s60, s43
	s_add_co_ci_u32 s2, s61, s1
	s_mul_i32 s58, s57, s59
	s_add_co_ci_u32 s59, s47, 0
	s_delay_alu instid0(SALU_CYCLE_1) | instskip(NEXT) | instid1(SALU_CYCLE_1)
	s_add_nc_u64 s[58:59], s[2:3], s[58:59]
	s_add_co_u32 s56, s56, s58
	s_cselect_b32 s1, -1, 0
	v_mul_hi_u32 v18, v8, s56
	s_cmp_lg_u32 s1, 0
	s_add_co_ci_u32 s2, s57, s59
	s_and_b64 s[58:59], s[56:57], s[36:37]
	v_mul_u64_e32 v[10:11], s[2:3], v[8:9]
	v_mul_u64_e32 v[6:7], s[58:59], v[12:13]
	;; [unrolled: 1-line block ×3, first 2 shown]
	s_delay_alu instid0(VALU_DEP_3) | instskip(NEXT) | instid1(VALU_DEP_1)
	v_add_nc_u64_e32 v[10:11], v[18:19], v[10:11]
	v_add_co_u32 v3, vcc_lo, v10, v6
	s_delay_alu instid0(VALU_DEP_2) | instskip(NEXT) | instid1(VALU_DEP_4)
	v_add_co_ci_u32_e32 v18, vcc_lo, v11, v7, vcc_lo
	v_add_co_ci_u32_e32 v17, vcc_lo, 0, v17, vcc_lo
	s_delay_alu instid0(VALU_DEP_1) | instskip(NEXT) | instid1(VALU_DEP_1)
	v_add_nc_u64_e32 v[6:7], v[18:19], v[16:17]
	v_mul_u64_e32 v[10:11], s[44:45], v[6:7]
	s_delay_alu instid0(VALU_DEP_1) | instskip(NEXT) | instid1(VALU_DEP_2)
	v_sub_nc_u32_e32 v3, v12, v11
	v_sub_co_u32 v5, vcc_lo, v8, v10
	s_delay_alu instid0(VALU_DEP_1) | instskip(NEXT) | instid1(VALU_DEP_3)
	v_sub_co_ci_u32_e64 v12, null, v12, v11, vcc_lo
	v_subrev_co_ci_u32_e64 v3, null, s45, v3, vcc_lo
	s_delay_alu instid0(VALU_DEP_3) | instskip(SKIP_1) | instid1(VALU_DEP_3)
	v_sub_co_u32 v8, s1, v5, s44
	v_add_nc_u64_e32 v[10:11], 1, v[6:7]
	v_subrev_co_ci_u32_e64 v3, null, 0, v3, s1
	s_delay_alu instid0(VALU_DEP_3) | instskip(SKIP_1) | instid1(VALU_DEP_3)
	v_cmp_le_u32_e32 vcc_lo, s44, v8
	v_cndmask_b32_e64 v8, 0, -1, vcc_lo
	v_cmp_le_u32_e32 vcc_lo, s45, v3
	v_cndmask_b32_e64 v9, 0, -1, vcc_lo
	;; [unrolled: 2-line block ×4, first 2 shown]
	v_cmp_eq_u32_e32 vcc_lo, s45, v3
	v_cndmask_b32_e32 v3, v9, v8, vcc_lo
	v_cmp_eq_u32_e32 vcc_lo, s45, v12
	v_add_nc_u64_e32 v[8:9], 2, v[6:7]
	v_cndmask_b32_e32 v5, v13, v5, vcc_lo
	s_delay_alu instid0(VALU_DEP_4) | instskip(NEXT) | instid1(VALU_DEP_2)
	v_cmp_ne_u32_e32 vcc_lo, 0, v3
	v_cmp_ne_u32_e64 s1, 0, v5
	s_delay_alu instid0(VALU_DEP_4) | instskip(NEXT) | instid1(VALU_DEP_1)
	v_dual_cndmask_b32 v3, v11, v9, vcc_lo :: v_dual_cndmask_b32 v5, v10, v8, vcc_lo
	v_dual_cndmask_b32 v6, v6, v5, s1 :: v_dual_mov_b32 v5, v4
	s_delay_alu instid0(VALU_DEP_1) | instskip(NEXT) | instid1(VALU_DEP_1)
	v_dual_cndmask_b32 v3, v7, v3, s1 :: v_dual_bitop2_b32 v6, v6, v4 bitop3:0x14
	v_xor_b32_e32 v7, v3, v4
	s_delay_alu instid0(VALU_DEP_1)
	v_sub_nc_u64_e32 v[4:5], v[6:7], v[4:5]
.LBB19_6:                               ;   in Loop: Header=BB19_4 Depth=1
	s_and_not1_saveexec_b32 s1, s46
	s_cbranch_execz .LBB19_8
; %bb.7:                                ;   in Loop: Header=BB19_4 Depth=1
	s_sub_co_i32 s2, 0, s12
	s_delay_alu instid0(SALU_CYCLE_1) | instskip(NEXT) | instid1(VALU_DEP_1)
	v_mul_lo_u32 v3, s2, v14
	v_mul_hi_u32 v3, v14, v3
	s_delay_alu instid0(VALU_DEP_1) | instskip(NEXT) | instid1(VALU_DEP_1)
	v_add_nc_u32_e32 v3, v14, v3
	v_mul_hi_u32 v3, v0, v3
	s_delay_alu instid0(VALU_DEP_1) | instskip(NEXT) | instid1(VALU_DEP_1)
	v_mul_lo_u32 v4, v3, s12
	v_sub_nc_u32_e32 v4, v0, v4
	s_delay_alu instid0(VALU_DEP_1) | instskip(SKIP_1) | instid1(VALU_DEP_2)
	v_subrev_nc_u32_e32 v6, s12, v4
	v_cmp_le_u32_e32 vcc_lo, s12, v4
	v_dual_cndmask_b32 v4, v4, v6 :: v_dual_add_nc_u32 v5, 1, v3
	s_delay_alu instid0(VALU_DEP_1) | instskip(NEXT) | instid1(VALU_DEP_2)
	v_cndmask_b32_e32 v3, v3, v5, vcc_lo
	v_cmp_le_u32_e32 vcc_lo, s12, v4
	s_delay_alu instid0(VALU_DEP_2) | instskip(NEXT) | instid1(VALU_DEP_1)
	v_add_nc_u32_e32 v5, 1, v3
	v_dual_cndmask_b32 v4, v3, v5 :: v_dual_mov_b32 v5, v2
.LBB19_8:                               ;   in Loop: Header=BB19_4 Depth=1
	s_or_b32 exec_lo, exec_lo, s1
	s_delay_alu instid0(VALU_DEP_1) | instskip(SKIP_1) | instid1(VALU_DEP_1)
	v_or_b32_e32 v3, s11, v5
                                        ; implicit-def: $vgpr6_vgpr7
	s_mov_b32 s1, exec_lo
	v_cmpx_ne_u64_e32 0, v[2:3]
	s_xor_b32 s43, exec_lo, s1
	s_cbranch_execz .LBB19_10
; %bb.9:                                ;   in Loop: Header=BB19_4 Depth=1
	s_ashr_i32 s44, s11, 31
	v_dual_mov_b32 v11, v2 :: v_dual_ashrrev_i32 v6, 31, v5
	s_mov_b32 s45, s44
	s_delay_alu instid0(SALU_CYCLE_1) | instskip(NEXT) | instid1(VALU_DEP_1)
	s_add_nc_u64 s[46:47], s[10:11], s[44:45]
	v_mov_b32_e32 v7, v6
	s_xor_b64 s[46:47], s[46:47], s[44:45]
	s_delay_alu instid0(SALU_CYCLE_1)
	s_cvt_f32_u32 s1, s46
	s_cvt_f32_u32 s2, s47
	s_sub_nc_u64 s[58:59], 0, s[46:47]
	v_add_nc_u64_e32 v[8:9], v[4:5], v[6:7]
	v_mov_b32_e32 v17, v2
	s_fmamk_f32 s1, s2, 0x4f800000, s1
	s_delay_alu instid0(SALU_CYCLE_3) | instskip(NEXT) | instid1(VALU_DEP_2)
	v_s_rcp_f32 s1, s1
	v_xor_b32_e32 v10, v8, v6
	s_delay_alu instid0(VALU_DEP_3) | instskip(NEXT) | instid1(TRANS32_DEP_1)
	v_dual_mov_b32 v21, v2 :: v_dual_bitop2_b32 v16, v9, v6 bitop3:0x14
	s_mul_f32 s1, s1, 0x5f7ffffc
	s_delay_alu instid0(SALU_CYCLE_3) | instskip(NEXT) | instid1(SALU_CYCLE_3)
	s_mul_f32 s2, s1, 0x2f800000
	s_trunc_f32 s2, s2
	s_delay_alu instid0(SALU_CYCLE_3) | instskip(SKIP_1) | instid1(SALU_CYCLE_2)
	s_fmamk_f32 s1, s2, 0xcf800000, s1
	s_cvt_u32_f32 s57, s2
	s_cvt_u32_f32 s56, s1
	s_delay_alu instid0(SALU_CYCLE_3) | instskip(NEXT) | instid1(SALU_CYCLE_1)
	s_mul_u64 s[60:61], s[58:59], s[56:57]
	s_mul_hi_u32 s63, s56, s61
	s_mul_i32 s62, s56, s61
	s_mul_hi_u32 s2, s56, s60
	s_mul_i32 s45, s57, s60
	s_add_nc_u64 s[62:63], s[2:3], s[62:63]
	s_mul_hi_u32 s1, s57, s60
	s_mul_hi_u32 s55, s57, s61
	s_add_co_u32 s2, s62, s45
	s_add_co_ci_u32 s2, s63, s1
	s_mul_i32 s60, s57, s61
	s_add_co_ci_u32 s61, s55, 0
	s_delay_alu instid0(SALU_CYCLE_1) | instskip(NEXT) | instid1(SALU_CYCLE_1)
	s_add_nc_u64 s[60:61], s[2:3], s[60:61]
	s_add_co_u32 s56, s56, s60
	s_cselect_b32 s1, -1, 0
	s_delay_alu instid0(SALU_CYCLE_1) | instskip(SKIP_1) | instid1(SALU_CYCLE_1)
	s_cmp_lg_u32 s1, 0
	s_add_co_ci_u32 s57, s57, s61
	s_mul_u64 s[58:59], s[58:59], s[56:57]
	s_delay_alu instid0(SALU_CYCLE_1)
	s_mul_hi_u32 s61, s56, s59
	s_mul_i32 s60, s56, s59
	s_mul_hi_u32 s2, s56, s58
	s_mul_i32 s45, s57, s58
	s_add_nc_u64 s[60:61], s[2:3], s[60:61]
	s_mul_hi_u32 s1, s57, s58
	s_mul_hi_u32 s55, s57, s59
	s_add_co_u32 s2, s60, s45
	s_add_co_ci_u32 s2, s61, s1
	s_mul_i32 s58, s57, s59
	s_add_co_ci_u32 s59, s55, 0
	s_delay_alu instid0(SALU_CYCLE_1) | instskip(NEXT) | instid1(SALU_CYCLE_1)
	s_add_nc_u64 s[58:59], s[2:3], s[58:59]
	s_add_co_u32 s56, s56, s58
	s_cselect_b32 s1, -1, 0
	v_mul_hi_u32 v20, v10, s56
	s_cmp_lg_u32 s1, 0
	s_add_co_ci_u32 s2, s57, s59
	s_and_b64 s[58:59], s[56:57], s[36:37]
	v_mul_u64_e32 v[12:13], s[2:3], v[10:11]
	v_mul_u64_e32 v[8:9], s[58:59], v[16:17]
	;; [unrolled: 1-line block ×3, first 2 shown]
	s_delay_alu instid0(VALU_DEP_3) | instskip(NEXT) | instid1(VALU_DEP_1)
	v_add_nc_u64_e32 v[12:13], v[20:21], v[12:13]
	v_add_co_u32 v3, vcc_lo, v12, v8
	s_delay_alu instid0(VALU_DEP_2) | instskip(NEXT) | instid1(VALU_DEP_4)
	v_add_co_ci_u32_e32 v20, vcc_lo, v13, v9, vcc_lo
	v_add_co_ci_u32_e32 v19, vcc_lo, 0, v19, vcc_lo
	s_delay_alu instid0(VALU_DEP_1) | instskip(NEXT) | instid1(VALU_DEP_1)
	v_add_nc_u64_e32 v[8:9], v[20:21], v[18:19]
	v_mul_u64_e32 v[12:13], s[46:47], v[8:9]
	s_delay_alu instid0(VALU_DEP_1) | instskip(NEXT) | instid1(VALU_DEP_2)
	v_sub_nc_u32_e32 v3, v16, v13
	v_sub_co_u32 v5, vcc_lo, v10, v12
	s_delay_alu instid0(VALU_DEP_1) | instskip(NEXT) | instid1(VALU_DEP_3)
	v_sub_co_ci_u32_e64 v15, null, v16, v13, vcc_lo
	v_subrev_co_ci_u32_e64 v3, null, s47, v3, vcc_lo
	s_delay_alu instid0(VALU_DEP_3) | instskip(SKIP_1) | instid1(VALU_DEP_3)
	v_sub_co_u32 v7, s1, v5, s46
	v_add_nc_u64_e32 v[12:13], 1, v[8:9]
	v_subrev_co_ci_u32_e64 v3, null, 0, v3, s1
	s_delay_alu instid0(VALU_DEP_3) | instskip(SKIP_1) | instid1(VALU_DEP_3)
	v_cmp_le_u32_e32 vcc_lo, s46, v7
	v_cndmask_b32_e64 v7, 0, -1, vcc_lo
	v_cmp_le_u32_e32 vcc_lo, s47, v3
	v_cndmask_b32_e64 v10, 0, -1, vcc_lo
	;; [unrolled: 2-line block ×4, first 2 shown]
	v_cmp_eq_u32_e32 vcc_lo, s47, v3
	v_cndmask_b32_e32 v3, v10, v7, vcc_lo
	v_cmp_eq_u32_e32 vcc_lo, s47, v15
	v_add_nc_u64_e32 v[10:11], 2, v[8:9]
	v_cndmask_b32_e32 v5, v16, v5, vcc_lo
	s_delay_alu instid0(VALU_DEP_4) | instskip(NEXT) | instid1(VALU_DEP_2)
	v_cmp_ne_u32_e32 vcc_lo, 0, v3
	v_cmp_ne_u32_e64 s1, 0, v5
	s_delay_alu instid0(VALU_DEP_4) | instskip(NEXT) | instid1(VALU_DEP_1)
	v_dual_cndmask_b32 v3, v13, v11, vcc_lo :: v_dual_cndmask_b32 v5, v12, v10, vcc_lo
	v_dual_cndmask_b32 v3, v9, v3, s1 :: v_dual_bitop2_b32 v6, s44, v6 bitop3:0x14
	s_delay_alu instid0(VALU_DEP_1) | instskip(NEXT) | instid1(VALU_DEP_2)
	v_dual_cndmask_b32 v5, v8, v5, s1 :: v_dual_mov_b32 v7, v6
	v_xor_b32_e32 v9, v3, v6
	s_delay_alu instid0(VALU_DEP_2) | instskip(NEXT) | instid1(VALU_DEP_1)
	v_xor_b32_e32 v8, v5, v6
	v_sub_nc_u64_e32 v[6:7], v[8:9], v[6:7]
.LBB19_10:                              ;   in Loop: Header=BB19_4 Depth=1
	s_and_not1_saveexec_b32 s1, s43
	s_cbranch_execz .LBB19_12
; %bb.11:                               ;   in Loop: Header=BB19_4 Depth=1
	v_cvt_f32_u32_e32 v3, s10
	s_sub_co_i32 s2, 0, s10
	s_delay_alu instid0(VALU_DEP_1) | instskip(SKIP_1) | instid1(TRANS32_DEP_1)
	v_rcp_iflag_f32_e32 v3, v3
	v_nop
	v_mul_f32_e32 v3, 0x4f7ffffe, v3
	s_delay_alu instid0(VALU_DEP_1) | instskip(NEXT) | instid1(VALU_DEP_1)
	v_cvt_u32_f32_e32 v3, v3
	v_mul_lo_u32 v5, s2, v3
	s_delay_alu instid0(VALU_DEP_1) | instskip(NEXT) | instid1(VALU_DEP_1)
	v_mul_hi_u32 v5, v3, v5
	v_add_nc_u32_e32 v3, v3, v5
	s_delay_alu instid0(VALU_DEP_1) | instskip(NEXT) | instid1(VALU_DEP_1)
	v_mul_hi_u32 v3, v4, v3
	v_mul_lo_u32 v5, v3, s10
	s_delay_alu instid0(VALU_DEP_1) | instskip(NEXT) | instid1(VALU_DEP_1)
	v_dual_add_nc_u32 v6, 1, v3 :: v_dual_sub_nc_u32 v5, v4, v5
	v_subrev_nc_u32_e32 v7, s10, v5
	v_cmp_le_u32_e32 vcc_lo, s10, v5
	s_delay_alu instid0(VALU_DEP_2) | instskip(NEXT) | instid1(VALU_DEP_4)
	v_dual_cndmask_b32 v5, v5, v7, vcc_lo :: v_dual_mov_b32 v7, v2
	v_cndmask_b32_e32 v3, v3, v6, vcc_lo
	s_delay_alu instid0(VALU_DEP_2) | instskip(NEXT) | instid1(VALU_DEP_2)
	v_cmp_le_u32_e32 vcc_lo, s10, v5
	v_add_nc_u32_e32 v6, 1, v3
	s_delay_alu instid0(VALU_DEP_1)
	v_cndmask_b32_e32 v6, v3, v6, vcc_lo
.LBB19_12:                              ;   in Loop: Header=BB19_4 Depth=1
	s_or_b32 exec_lo, exec_lo, s1
	s_delay_alu instid0(VALU_DEP_1) | instskip(SKIP_1) | instid1(VALU_DEP_1)
	v_or_b32_e32 v3, s9, v7
                                        ; implicit-def: $vgpr12_vgpr13
	s_mov_b32 s1, exec_lo
	v_cmpx_ne_u64_e32 0, v[2:3]
	s_xor_b32 s43, exec_lo, s1
	s_cbranch_execz .LBB19_14
; %bb.13:                               ;   in Loop: Header=BB19_4 Depth=1
	s_ashr_i32 s44, s9, 31
	v_dual_mov_b32 v13, v2 :: v_dual_ashrrev_i32 v8, 31, v7
	s_mov_b32 s45, s44
	v_mov_b32_e32 v23, v2
	s_add_nc_u64 s[46:47], s[8:9], s[44:45]
	s_delay_alu instid0(VALU_DEP_2) | instskip(SKIP_1) | instid1(SALU_CYCLE_1)
	v_mov_b32_e32 v9, v8
	s_xor_b64 s[46:47], s[46:47], s[44:45]
	s_cvt_f32_u32 s1, s46
	s_cvt_f32_u32 s2, s47
	s_sub_nc_u64 s[58:59], 0, s[46:47]
	v_add_nc_u64_e32 v[10:11], v[6:7], v[8:9]
	v_mov_b32_e32 v19, v2
	s_fmamk_f32 s1, s2, 0x4f800000, s1
	s_delay_alu instid0(SALU_CYCLE_3) | instskip(NEXT) | instid1(VALU_DEP_2)
	v_s_rcp_f32 s1, s1
	v_xor_b32_e32 v12, v10, v8
	s_delay_alu instid0(VALU_DEP_3) | instskip(SKIP_1) | instid1(TRANS32_DEP_1)
	v_xor_b32_e32 v18, v11, v8
	v_xor_b32_e32 v8, s44, v8
	s_mul_f32 s1, s1, 0x5f7ffffc
	s_delay_alu instid0(SALU_CYCLE_3) | instskip(NEXT) | instid1(SALU_CYCLE_3)
	s_mul_f32 s2, s1, 0x2f800000
	s_trunc_f32 s2, s2
	s_delay_alu instid0(SALU_CYCLE_3) | instskip(SKIP_1) | instid1(SALU_CYCLE_2)
	s_fmamk_f32 s1, s2, 0xcf800000, s1
	s_cvt_u32_f32 s57, s2
	s_cvt_u32_f32 s56, s1
	s_delay_alu instid0(SALU_CYCLE_3) | instskip(NEXT) | instid1(SALU_CYCLE_1)
	s_mul_u64 s[60:61], s[58:59], s[56:57]
	s_mul_hi_u32 s63, s56, s61
	s_mul_i32 s62, s56, s61
	s_mul_hi_u32 s2, s56, s60
	s_mul_i32 s45, s57, s60
	s_add_nc_u64 s[62:63], s[2:3], s[62:63]
	s_mul_hi_u32 s1, s57, s60
	s_mul_hi_u32 s55, s57, s61
	s_add_co_u32 s2, s62, s45
	s_add_co_ci_u32 s2, s63, s1
	s_mul_i32 s60, s57, s61
	s_add_co_ci_u32 s61, s55, 0
	s_delay_alu instid0(SALU_CYCLE_1) | instskip(NEXT) | instid1(SALU_CYCLE_1)
	s_add_nc_u64 s[60:61], s[2:3], s[60:61]
	s_add_co_u32 s56, s56, s60
	s_cselect_b32 s1, -1, 0
	s_delay_alu instid0(SALU_CYCLE_1) | instskip(SKIP_1) | instid1(SALU_CYCLE_1)
	s_cmp_lg_u32 s1, 0
	s_add_co_ci_u32 s57, s57, s61
	s_mul_u64 s[58:59], s[58:59], s[56:57]
	s_delay_alu instid0(SALU_CYCLE_1)
	s_mul_hi_u32 s61, s56, s59
	s_mul_i32 s60, s56, s59
	s_mul_hi_u32 s2, s56, s58
	s_mul_i32 s45, s57, s58
	s_add_nc_u64 s[60:61], s[2:3], s[60:61]
	s_mul_hi_u32 s1, s57, s58
	s_mul_hi_u32 s55, s57, s59
	s_add_co_u32 s2, s60, s45
	s_add_co_ci_u32 s2, s61, s1
	s_mul_i32 s58, s57, s59
	s_add_co_ci_u32 s59, s55, 0
	s_delay_alu instid0(SALU_CYCLE_1) | instskip(NEXT) | instid1(SALU_CYCLE_1)
	s_add_nc_u64 s[58:59], s[2:3], s[58:59]
	s_add_co_u32 s56, s56, s58
	s_cselect_b32 s1, -1, 0
	v_mul_hi_u32 v22, v12, s56
	s_cmp_lg_u32 s1, 0
	s_add_co_ci_u32 s2, s57, s59
	s_and_b64 s[58:59], s[56:57], s[36:37]
	v_mul_u64_e32 v[16:17], s[2:3], v[12:13]
	v_mul_u64_e32 v[10:11], s[58:59], v[18:19]
	;; [unrolled: 1-line block ×3, first 2 shown]
	s_delay_alu instid0(VALU_DEP_3) | instskip(NEXT) | instid1(VALU_DEP_1)
	v_add_nc_u64_e32 v[16:17], v[22:23], v[16:17]
	v_add_co_u32 v3, vcc_lo, v16, v10
	s_delay_alu instid0(VALU_DEP_2) | instskip(NEXT) | instid1(VALU_DEP_4)
	v_add_co_ci_u32_e32 v22, vcc_lo, v17, v11, vcc_lo
	v_add_co_ci_u32_e32 v21, vcc_lo, 0, v21, vcc_lo
	s_delay_alu instid0(VALU_DEP_1) | instskip(NEXT) | instid1(VALU_DEP_1)
	v_add_nc_u64_e32 v[10:11], v[22:23], v[20:21]
	v_mul_u64_e32 v[16:17], s[46:47], v[10:11]
	s_delay_alu instid0(VALU_DEP_1) | instskip(NEXT) | instid1(VALU_DEP_2)
	v_sub_nc_u32_e32 v3, v18, v17
	v_sub_co_u32 v5, vcc_lo, v12, v16
	s_delay_alu instid0(VALU_DEP_1) | instskip(NEXT) | instid1(VALU_DEP_3)
	v_sub_co_ci_u32_e64 v9, null, v18, v17, vcc_lo
	v_subrev_co_ci_u32_e64 v3, null, s47, v3, vcc_lo
	s_delay_alu instid0(VALU_DEP_3) | instskip(SKIP_1) | instid1(VALU_DEP_3)
	v_sub_co_u32 v7, s1, v5, s46
	v_add_nc_u64_e32 v[16:17], 1, v[10:11]
	v_subrev_co_ci_u32_e64 v3, null, 0, v3, s1
	s_delay_alu instid0(VALU_DEP_3) | instskip(SKIP_1) | instid1(VALU_DEP_3)
	v_cmp_le_u32_e32 vcc_lo, s46, v7
	v_cndmask_b32_e64 v7, 0, -1, vcc_lo
	v_cmp_le_u32_e32 vcc_lo, s47, v3
	v_cndmask_b32_e64 v12, 0, -1, vcc_lo
	;; [unrolled: 2-line block ×4, first 2 shown]
	v_cmp_eq_u32_e32 vcc_lo, s47, v3
	v_cndmask_b32_e32 v3, v12, v7, vcc_lo
	v_cmp_eq_u32_e32 vcc_lo, s47, v9
	v_add_nc_u64_e32 v[12:13], 2, v[10:11]
	v_dual_mov_b32 v9, v8 :: v_dual_cndmask_b32 v5, v15, v5, vcc_lo
	s_delay_alu instid0(VALU_DEP_4) | instskip(NEXT) | instid1(VALU_DEP_2)
	v_cmp_ne_u32_e32 vcc_lo, 0, v3
	v_cmp_ne_u32_e64 s1, 0, v5
	s_delay_alu instid0(VALU_DEP_4) | instskip(NEXT) | instid1(VALU_DEP_1)
	v_dual_cndmask_b32 v3, v17, v13, vcc_lo :: v_dual_cndmask_b32 v5, v16, v12, vcc_lo
	v_dual_cndmask_b32 v3, v11, v3, s1 :: v_dual_cndmask_b32 v5, v10, v5, s1
	s_delay_alu instid0(VALU_DEP_1) | instskip(NEXT) | instid1(VALU_DEP_2)
	v_xor_b32_e32 v11, v3, v8
	v_xor_b32_e32 v10, v5, v8
	s_delay_alu instid0(VALU_DEP_1)
	v_sub_nc_u64_e32 v[12:13], v[10:11], v[8:9]
.LBB19_14:                              ;   in Loop: Header=BB19_4 Depth=1
	s_and_not1_saveexec_b32 s1, s43
	s_cbranch_execz .LBB19_16
; %bb.15:                               ;   in Loop: Header=BB19_4 Depth=1
	v_cvt_f32_u32_e32 v3, s8
	s_sub_co_i32 s2, 0, s8
	s_delay_alu instid0(VALU_DEP_1) | instskip(SKIP_1) | instid1(TRANS32_DEP_1)
	v_rcp_iflag_f32_e32 v3, v3
	v_nop
	v_mul_f32_e32 v3, 0x4f7ffffe, v3
	s_delay_alu instid0(VALU_DEP_1) | instskip(NEXT) | instid1(VALU_DEP_1)
	v_cvt_u32_f32_e32 v3, v3
	v_mul_lo_u32 v5, s2, v3
	s_delay_alu instid0(VALU_DEP_1) | instskip(NEXT) | instid1(VALU_DEP_1)
	v_mul_hi_u32 v5, v3, v5
	v_add_nc_u32_e32 v3, v3, v5
	s_delay_alu instid0(VALU_DEP_1) | instskip(NEXT) | instid1(VALU_DEP_1)
	v_mul_hi_u32 v3, v6, v3
	v_mul_lo_u32 v5, v3, s8
	s_delay_alu instid0(VALU_DEP_1) | instskip(NEXT) | instid1(VALU_DEP_1)
	v_sub_nc_u32_e32 v5, v6, v5
	v_subrev_nc_u32_e32 v8, s8, v5
	v_cmp_le_u32_e32 vcc_lo, s8, v5
	s_delay_alu instid0(VALU_DEP_2) | instskip(NEXT) | instid1(VALU_DEP_1)
	v_dual_add_nc_u32 v7, 1, v3 :: v_dual_cndmask_b32 v5, v5, v8, vcc_lo
	v_cndmask_b32_e32 v3, v3, v7, vcc_lo
	s_delay_alu instid0(VALU_DEP_2) | instskip(NEXT) | instid1(VALU_DEP_2)
	v_cmp_le_u32_e32 vcc_lo, s8, v5
	v_add_nc_u32_e32 v7, 1, v3
	s_delay_alu instid0(VALU_DEP_1)
	v_cndmask_b32_e32 v12, v3, v7, vcc_lo
.LBB19_16:                              ;   in Loop: Header=BB19_4 Depth=1
	s_or_b32 exec_lo, exec_lo, s1
	v_mul_lo_u32 v3, v6, s10
	s_mov_b32 s1, exec_lo
	v_dual_mov_b32 v8, 0 :: v_dual_mov_b32 v10, 0
	s_delay_alu instid0(VALU_DEP_2) | instskip(NEXT) | instid1(VALU_DEP_1)
	v_sub_nc_u32_e32 v3, v4, v3
	v_add_nc_u32_e32 v3, s24, v3
	s_delay_alu instid0(VALU_DEP_1)
	v_cmpx_le_i32_e64 s20, v3
	s_cbranch_execz .LBB19_18
; %bb.17:                               ;   in Loop: Header=BB19_4 Depth=1
	v_subrev_nc_u32_e32 v10, s20, v3
	v_mov_b32_e32 v11, v2
	s_delay_alu instid0(VALU_DEP_1) | instskip(NEXT) | instid1(VALU_DEP_1)
	v_mul_u64_e32 v[16:17], s[30:31], v[10:11]
	v_mul_lo_u32 v5, v17, s33
	v_add_nc_u32_e32 v7, 1, v17
	s_delay_alu instid0(VALU_DEP_2) | instskip(NEXT) | instid1(VALU_DEP_1)
	v_sub_nc_u32_e32 v5, v10, v5
	v_cmp_le_u32_e32 vcc_lo, s33, v5
	s_delay_alu instid0(VALU_DEP_3) | instskip(SKIP_1) | instid1(VALU_DEP_1)
	v_cndmask_b32_e32 v7, v17, v7, vcc_lo
	v_subrev_nc_u32_e32 v9, s33, v5
	v_dual_cndmask_b32 v5, v5, v9, vcc_lo :: v_dual_add_nc_u32 v9, 1, v7
	s_delay_alu instid0(VALU_DEP_1) | instskip(NEXT) | instid1(VALU_DEP_2)
	v_cmp_le_u32_e32 vcc_lo, s33, v5
	v_cndmask_b32_e32 v5, v7, v9, vcc_lo
	s_delay_alu instid0(VALU_DEP_1) | instskip(NEXT) | instid1(VALU_DEP_1)
	v_xor_b32_e32 v5, s51, v5
	v_subrev_nc_u32_e32 v5, s51, v5
	s_delay_alu instid0(VALU_DEP_1)
	v_add_nc_u32_e32 v10, 1, v5
.LBB19_18:                              ;   in Loop: Header=BB19_4 Depth=1
	s_or_b32 exec_lo, exec_lo, s1
	v_mul_lo_u32 v4, v4, s12
	s_mov_b32 s1, exec_lo
	s_delay_alu instid0(VALU_DEP_1) | instskip(NEXT) | instid1(VALU_DEP_1)
	v_sub_nc_u32_e32 v4, v0, v4
	v_add_nc_u32_e32 v4, s25, v4
	s_delay_alu instid0(VALU_DEP_1)
	v_cmpx_le_i32_e64 s21, v4
	s_cbranch_execz .LBB19_20
; %bb.19:                               ;   in Loop: Header=BB19_4 Depth=1
	v_subrev_nc_u32_e32 v8, s21, v4
	v_mov_b32_e32 v9, v2
	s_delay_alu instid0(VALU_DEP_1) | instskip(NEXT) | instid1(VALU_DEP_1)
	v_mul_u64_e32 v[16:17], s[34:35], v[8:9]
	v_mul_lo_u32 v5, v17, s48
	s_delay_alu instid0(VALU_DEP_1) | instskip(NEXT) | instid1(VALU_DEP_1)
	v_sub_nc_u32_e32 v5, v8, v5
	v_subrev_nc_u32_e32 v8, s48, v5
	v_cmp_le_u32_e32 vcc_lo, s48, v5
	s_delay_alu instid0(VALU_DEP_2) | instskip(NEXT) | instid1(VALU_DEP_1)
	v_dual_add_nc_u32 v7, 1, v17 :: v_dual_cndmask_b32 v5, v5, v8, vcc_lo
	v_cndmask_b32_e32 v7, v17, v7, vcc_lo
	s_delay_alu instid0(VALU_DEP_2) | instskip(NEXT) | instid1(VALU_DEP_2)
	v_cmp_le_u32_e32 vcc_lo, s48, v5
	v_add_nc_u32_e32 v8, 1, v7
	s_delay_alu instid0(VALU_DEP_1) | instskip(NEXT) | instid1(VALU_DEP_1)
	v_cndmask_b32_e32 v5, v7, v8, vcc_lo
	v_xor_b32_e32 v5, s52, v5
	s_delay_alu instid0(VALU_DEP_1) | instskip(NEXT) | instid1(VALU_DEP_1)
	v_subrev_nc_u32_e32 v5, s52, v5
	v_add_nc_u32_e32 v8, 1, v5
.LBB19_20:                              ;   in Loop: Header=BB19_4 Depth=1
	s_or_b32 exec_lo, exec_lo, s1
	v_dual_sub_nc_u32 v5, 0, v3 :: v_dual_mov_b32 v17, v2
	s_mov_b32 s43, exec_lo
	s_delay_alu instid0(VALU_DEP_1) | instskip(NEXT) | instid1(VALU_DEP_1)
	v_max_i32_e32 v16, v3, v5
	v_mul_u64_e32 v[18:19], s[30:31], v[16:17]
	s_delay_alu instid0(VALU_DEP_1) | instskip(NEXT) | instid1(VALU_DEP_1)
	v_mul_lo_u32 v5, v19, s33
	v_dual_add_nc_u32 v7, 1, v19 :: v_dual_sub_nc_u32 v5, v16, v5
	s_delay_alu instid0(VALU_DEP_1) | instskip(NEXT) | instid1(VALU_DEP_2)
	v_cmp_le_u32_e32 vcc_lo, s33, v5
	v_cndmask_b32_e32 v7, v19, v7, vcc_lo
	v_subrev_nc_u32_e32 v9, s33, v5
	s_delay_alu instid0(VALU_DEP_1) | instskip(NEXT) | instid1(VALU_DEP_3)
	v_dual_ashrrev_i32 v3, 31, v3 :: v_dual_cndmask_b32 v5, v5, v9, vcc_lo
	v_add_nc_u32_e32 v9, 1, v7
	s_delay_alu instid0(VALU_DEP_2) | instskip(NEXT) | instid1(VALU_DEP_2)
	v_cmp_le_u32_e32 vcc_lo, s33, v5
	v_dual_cndmask_b32 v5, v7, v9, vcc_lo :: v_dual_bitop2_b32 v3, s51, v3 bitop3:0x14
	s_delay_alu instid0(VALU_DEP_1) | instskip(NEXT) | instid1(VALU_DEP_1)
	v_xor_b32_e32 v5, v5, v3
	v_dual_sub_nc_u32 v3, v5, v3 :: v_dual_mov_b32 v5, 0
	s_delay_alu instid0(VALU_DEP_1) | instskip(NEXT) | instid1(VALU_DEP_1)
	v_add_min_i32_e64 v3, v3, 1, s14
	v_cmpx_lt_i32_e64 v10, v3
	s_cbranch_execz .LBB19_3
; %bb.21:                               ;   in Loop: Header=BB19_4 Depth=1
	v_dual_sub_nc_u32 v5, 0, v4 :: v_dual_mov_b32 v17, v2
	v_dual_ashrrev_i32 v11, 31, v10 :: v_dual_ashrrev_i32 v9, 31, v8
	s_mov_b32 s44, 0
	s_delay_alu instid0(VALU_DEP_2) | instskip(SKIP_1) | instid1(VALU_DEP_3)
	v_max_i32_e32 v16, v4, v5
	v_mul_lo_u32 v5, v12, s8
	v_lshlrev_b64_e32 v[20:21], 1, v[10:11]
	v_lshlrev_b64_e32 v[22:23], 1, v[8:9]
	v_dual_mov_b32 v15, 0 :: v_dual_ashrrev_i32 v4, 31, v4
	s_delay_alu instid0(VALU_DEP_4) | instskip(SKIP_1) | instid1(VALU_DEP_2)
	v_sub_nc_u32_e32 v6, v6, v5
	v_mul_u64_e32 v[18:19], s[34:35], v[16:17]
	v_dual_ashrrev_i32 v5, 31, v12 :: v_dual_ashrrev_i32 v7, 31, v6
	s_delay_alu instid0(VALU_DEP_1) | instskip(NEXT) | instid1(VALU_DEP_1)
	v_mad_nc_u64_u32 v[6:7], v12, s8, v[6:7]
	v_mad_u32 v5, v5, s8, v7
	s_delay_alu instid0(VALU_DEP_2) | instskip(NEXT) | instid1(VALU_DEP_2)
	v_mad_nc_u64_u32 v[20:21], s38, v6, v[20:21]
	v_mad_u32 v5, v12, s9, v5
	v_mul_lo_u32 v11, v19, s48
	s_delay_alu instid0(VALU_DEP_3) | instskip(NEXT) | instid1(VALU_DEP_4)
	v_mad_u32 v12, s39, v6, v21
	v_mad_nc_u64_u32 v[6:7], s16, v20, v[22:23]
	s_delay_alu instid0(VALU_DEP_3) | instskip(SKIP_1) | instid1(VALU_DEP_4)
	v_sub_nc_u32_e32 v9, v16, v11
	v_add_nc_u32_e32 v11, 1, v19
	v_mad_u32 v5, s38, v5, v12
	s_delay_alu instid0(VALU_DEP_4) | instskip(NEXT) | instid1(VALU_DEP_4)
	v_mad_u32 v7, s17, v20, v7
	v_cmp_le_u32_e32 vcc_lo, s48, v9
	s_delay_alu instid0(VALU_DEP_4) | instskip(SKIP_1) | instid1(VALU_DEP_4)
	v_cndmask_b32_e32 v11, v19, v11, vcc_lo
	v_subrev_nc_u32_e32 v13, s48, v9
	v_mad_u32 v7, s16, v5, v7
	s_delay_alu instid0(VALU_DEP_2) | instskip(NEXT) | instid1(VALU_DEP_1)
	v_dual_cndmask_b32 v9, v9, v13, vcc_lo :: v_dual_add_nc_u32 v13, 1, v11
	v_cmp_le_u32_e32 vcc_lo, s48, v9
	s_delay_alu instid0(VALU_DEP_2) | instskip(SKIP_1) | instid1(VALU_DEP_1)
	v_dual_cndmask_b32 v9, v11, v13, vcc_lo :: v_dual_bitop2_b32 v4, s52, v4 bitop3:0x14
	v_mul_lo_u32 v13, s23, v8
	v_dual_add_nc_u32 v11, s15, v13 :: v_dual_bitop2_b32 v9, v9, v4 bitop3:0x14
	s_delay_alu instid0(VALU_DEP_1) | instskip(SKIP_1) | instid1(VALU_DEP_2)
	v_dual_sub_nc_u32 v4, v9, v4 :: v_dual_add_nc_u32 v12, s53, v13
	v_sub_nc_u32_e32 v13, s25, v13
	v_add_min_i32_e64 v9, v4, 1, s16
	v_add_nc_u64_e32 v[4:5], s[6:7], v[6:7]
	s_delay_alu instid0(VALU_DEP_2)
	v_cmp_lt_i32_e32 vcc_lo, v8, v9
	s_branch .LBB19_24
.LBB19_22:                              ;   in Loop: Header=BB19_24 Depth=2
	s_or_b32 exec_lo, exec_lo, s46
.LBB19_23:                              ;   in Loop: Header=BB19_24 Depth=2
	s_delay_alu instid0(SALU_CYCLE_1) | instskip(SKIP_2) | instid1(VALU_DEP_2)
	s_or_b32 exec_lo, exec_lo, s45
	v_add_nc_u32_e32 v10, 1, v10
	v_add_nc_u64_e32 v[4:5], s[40:41], v[4:5]
	v_cmp_ge_i32_e64 s1, v10, v3
	s_or_b32 s44, s1, s44
	s_delay_alu instid0(SALU_CYCLE_1)
	s_and_not1_b32 exec_lo, exec_lo, s44
	s_cbranch_execz .LBB19_2
.LBB19_24:                              ;   Parent Loop BB19_4 Depth=1
                                        ; =>  This Loop Header: Depth=2
                                        ;       Child Loop BB19_27 Depth 3
	s_and_saveexec_b32 s45, vcc_lo
	s_cbranch_execz .LBB19_23
; %bb.25:                               ;   in Loop: Header=BB19_24 Depth=2
	v_mul_lo_u32 v6, v10, s22
	s_mov_b32 s46, 0
	v_mov_b32_e32 v17, v12
	s_delay_alu instid0(VALU_DEP_2) | instskip(SKIP_2) | instid1(VALU_DEP_3)
	v_subrev_nc_u32_e32 v19, s24, v6
	v_mov_b32_e32 v16, v13
	v_mov_b64_e32 v[6:7], v[4:5]
	v_add_min_i32_e64 v20, v19, s20, s49
	v_dual_mov_b32 v18, v11 :: v_dual_max_i32 v21, 0, v19
	s_delay_alu instid0(VALU_DEP_2) | instskip(NEXT) | instid1(VALU_DEP_1)
	v_dual_sub_nc_u32 v19, v20, v19 :: v_dual_min_i32 v22, s10, v20
	v_cmp_gt_i32_e64 s1, v22, v21
	v_dual_mov_b32 v21, v8 :: v_dual_sub_nc_u32 v20, v22, v21
	s_branch .LBB19_27
.LBB19_26:                              ;   in Loop: Header=BB19_27 Depth=3
	s_wait_xcnt 0x0
	s_or_b32 exec_lo, exec_lo, s2
	v_dual_add_nc_u32 v21, 1, v21 :: v_dual_add_nc_u32 v18, s23, v18
	v_add_nc_u64_e32 v[6:7], 2, v[6:7]
	v_add_nc_u32_e32 v17, s23, v17
	v_subrev_nc_u32_e32 v16, s23, v16
	s_delay_alu instid0(VALU_DEP_4) | instskip(SKIP_1) | instid1(SALU_CYCLE_1)
	v_cmp_ge_i32_e64 s2, v21, v9
	s_or_b32 s46, s2, s46
	s_and_not1_b32 exec_lo, exec_lo, s46
	s_cbranch_execz .LBB19_22
.LBB19_27:                              ;   Parent Loop BB19_4 Depth=1
                                        ;     Parent Loop BB19_24 Depth=2
                                        ; =>    This Inner Loop Header: Depth=3
	v_dual_add_nc_u32 v23, s21, v18 :: v_dual_max_i32 v22, 0, v18
	s_delay_alu instid0(VALU_DEP_1) | instskip(NEXT) | instid1(VALU_DEP_1)
	v_min3_i32 v23, v23, s50, s12
	v_cmp_gt_i32_e64 s2, v23, v22
	s_and_b32 s47, s1, s2
	s_delay_alu instid0(SALU_CYCLE_1)
	s_and_saveexec_b32 s2, s47
	s_cbranch_execz .LBB19_26
; %bb.28:                               ;   in Loop: Header=BB19_27 Depth=3
	global_load_u16 v24, v[6:7], off
	v_dual_sub_nc_u32 v22, v23, v22 :: v_dual_min_i32 v25, s50, v17
	s_delay_alu instid0(VALU_DEP_1) | instskip(NEXT) | instid1(VALU_DEP_2)
	v_mul_lo_u32 v22, v22, v20
	v_add_nc_u32_e32 v25, v25, v16
	s_delay_alu instid0(VALU_DEP_1) | instskip(NEXT) | instid1(VALU_DEP_1)
	v_mul_lo_u32 v23, v25, v19
	v_cndmask_b32_e64 v22, v22, v23, s0
	s_delay_alu instid0(VALU_DEP_1) | instskip(NEXT) | instid1(VALU_DEP_1)
	v_cndmask_b32_e64 v22, v22, s28, s29
	v_cvt_f32_i32_e32 v22, v22
	s_delay_alu instid0(VALU_DEP_1) | instskip(NEXT) | instid1(VALU_DEP_1)
	v_cvt_f16_f32_e32 v22, v22
	v_cvt_f32_f16_e32 v23, v22
	s_delay_alu instid0(VALU_DEP_1)
	v_rcp_f32_e32 v23, v23
	s_wait_loadcnt 0x0
	v_cvt_f32_f16_e32 v25, v24
	s_delay_alu instid0(TRANS32_DEP_1) | instid1(VALU_DEP_1)
	v_mul_f32_e32 v25, v25, v23
	s_delay_alu instid0(VALU_DEP_1) | instskip(NEXT) | instid1(VALU_DEP_1)
	v_fma_mix_f32 v26, -v22, v25, v24 op_sel_hi:[1,0,1]
	v_fmac_f32_e32 v25, v26, v23
	s_delay_alu instid0(VALU_DEP_1) | instskip(NEXT) | instid1(VALU_DEP_1)
	v_fma_mix_f32 v26, -v22, v25, v24 op_sel_hi:[1,0,1]
	v_mul_f32_e32 v23, v26, v23
	s_delay_alu instid0(VALU_DEP_1) | instskip(NEXT) | instid1(VALU_DEP_1)
	v_and_b32_e32 v23, 0xff800000, v23
	v_add_f32_e32 v23, v23, v25
	s_delay_alu instid0(VALU_DEP_1) | instskip(NEXT) | instid1(VALU_DEP_1)
	v_cvt_f16_f32_e32 v23, v23
	v_div_fixup_f16 v22, v23, v22, v24
	s_delay_alu instid0(VALU_DEP_1) | instskip(NEXT) | instid1(VALU_DEP_1)
	v_cvt_f32_f16_e32 v22, v22
	v_add_f32_e32 v15, v15, v22
	s_branch .LBB19_26
.LBB19_29:
	s_endpgm
	.section	.rodata,"a",@progbits
	.p2align	6, 0x0
	.amdhsa_kernel _ZN2at6native12_GLOBAL__N_134avg_pool2d_backward_out_cuda_frameIN3c104HalfEflEEvT1_PKT_llllliiiiiiPS6_ibb
		.amdhsa_group_segment_fixed_size 0
		.amdhsa_private_segment_fixed_size 0
		.amdhsa_kernarg_size 352
		.amdhsa_user_sgpr_count 2
		.amdhsa_user_sgpr_dispatch_ptr 0
		.amdhsa_user_sgpr_queue_ptr 0
		.amdhsa_user_sgpr_kernarg_segment_ptr 1
		.amdhsa_user_sgpr_dispatch_id 0
		.amdhsa_user_sgpr_kernarg_preload_length 0
		.amdhsa_user_sgpr_kernarg_preload_offset 0
		.amdhsa_user_sgpr_private_segment_size 0
		.amdhsa_wavefront_size32 1
		.amdhsa_uses_dynamic_stack 0
		.amdhsa_enable_private_segment 0
		.amdhsa_system_sgpr_workgroup_id_x 1
		.amdhsa_system_sgpr_workgroup_id_y 0
		.amdhsa_system_sgpr_workgroup_id_z 0
		.amdhsa_system_sgpr_workgroup_info 0
		.amdhsa_system_vgpr_workitem_id 0
		.amdhsa_next_free_vgpr 27
		.amdhsa_next_free_sgpr 64
		.amdhsa_named_barrier_count 0
		.amdhsa_reserve_vcc 1
		.amdhsa_float_round_mode_32 0
		.amdhsa_float_round_mode_16_64 0
		.amdhsa_float_denorm_mode_32 3
		.amdhsa_float_denorm_mode_16_64 3
		.amdhsa_fp16_overflow 0
		.amdhsa_memory_ordered 1
		.amdhsa_forward_progress 1
		.amdhsa_inst_pref_size 30
		.amdhsa_round_robin_scheduling 0
		.amdhsa_exception_fp_ieee_invalid_op 0
		.amdhsa_exception_fp_denorm_src 0
		.amdhsa_exception_fp_ieee_div_zero 0
		.amdhsa_exception_fp_ieee_overflow 0
		.amdhsa_exception_fp_ieee_underflow 0
		.amdhsa_exception_fp_ieee_inexact 0
		.amdhsa_exception_int_div_zero 0
	.end_amdhsa_kernel
	.section	.text._ZN2at6native12_GLOBAL__N_134avg_pool2d_backward_out_cuda_frameIN3c104HalfEflEEvT1_PKT_llllliiiiiiPS6_ibb,"axG",@progbits,_ZN2at6native12_GLOBAL__N_134avg_pool2d_backward_out_cuda_frameIN3c104HalfEflEEvT1_PKT_llllliiiiiiPS6_ibb,comdat
.Lfunc_end19:
	.size	_ZN2at6native12_GLOBAL__N_134avg_pool2d_backward_out_cuda_frameIN3c104HalfEflEEvT1_PKT_llllliiiiiiPS6_ibb, .Lfunc_end19-_ZN2at6native12_GLOBAL__N_134avg_pool2d_backward_out_cuda_frameIN3c104HalfEflEEvT1_PKT_llllliiiiiiPS6_ibb
                                        ; -- End function
	.set _ZN2at6native12_GLOBAL__N_134avg_pool2d_backward_out_cuda_frameIN3c104HalfEflEEvT1_PKT_llllliiiiiiPS6_ibb.num_vgpr, 27
	.set _ZN2at6native12_GLOBAL__N_134avg_pool2d_backward_out_cuda_frameIN3c104HalfEflEEvT1_PKT_llllliiiiiiPS6_ibb.num_agpr, 0
	.set _ZN2at6native12_GLOBAL__N_134avg_pool2d_backward_out_cuda_frameIN3c104HalfEflEEvT1_PKT_llllliiiiiiPS6_ibb.numbered_sgpr, 64
	.set _ZN2at6native12_GLOBAL__N_134avg_pool2d_backward_out_cuda_frameIN3c104HalfEflEEvT1_PKT_llllliiiiiiPS6_ibb.num_named_barrier, 0
	.set _ZN2at6native12_GLOBAL__N_134avg_pool2d_backward_out_cuda_frameIN3c104HalfEflEEvT1_PKT_llllliiiiiiPS6_ibb.private_seg_size, 0
	.set _ZN2at6native12_GLOBAL__N_134avg_pool2d_backward_out_cuda_frameIN3c104HalfEflEEvT1_PKT_llllliiiiiiPS6_ibb.uses_vcc, 1
	.set _ZN2at6native12_GLOBAL__N_134avg_pool2d_backward_out_cuda_frameIN3c104HalfEflEEvT1_PKT_llllliiiiiiPS6_ibb.uses_flat_scratch, 0
	.set _ZN2at6native12_GLOBAL__N_134avg_pool2d_backward_out_cuda_frameIN3c104HalfEflEEvT1_PKT_llllliiiiiiPS6_ibb.has_dyn_sized_stack, 0
	.set _ZN2at6native12_GLOBAL__N_134avg_pool2d_backward_out_cuda_frameIN3c104HalfEflEEvT1_PKT_llllliiiiiiPS6_ibb.has_recursion, 0
	.set _ZN2at6native12_GLOBAL__N_134avg_pool2d_backward_out_cuda_frameIN3c104HalfEflEEvT1_PKT_llllliiiiiiPS6_ibb.has_indirect_call, 0
	.section	.AMDGPU.csdata,"",@progbits
; Kernel info:
; codeLenInByte = 3788
; TotalNumSgprs: 66
; NumVgprs: 27
; ScratchSize: 0
; MemoryBound: 0
; FloatMode: 240
; IeeeMode: 1
; LDSByteSize: 0 bytes/workgroup (compile time only)
; SGPRBlocks: 0
; VGPRBlocks: 1
; NumSGPRsForWavesPerEU: 66
; NumVGPRsForWavesPerEU: 27
; NamedBarCnt: 0
; Occupancy: 16
; WaveLimiterHint : 0
; COMPUTE_PGM_RSRC2:SCRATCH_EN: 0
; COMPUTE_PGM_RSRC2:USER_SGPR: 2
; COMPUTE_PGM_RSRC2:TRAP_HANDLER: 0
; COMPUTE_PGM_RSRC2:TGID_X_EN: 1
; COMPUTE_PGM_RSRC2:TGID_Y_EN: 0
; COMPUTE_PGM_RSRC2:TGID_Z_EN: 0
; COMPUTE_PGM_RSRC2:TIDIG_COMP_CNT: 0
	.section	.text._ZN2at6native12_GLOBAL__N_139avg_pool2d_backward_out_cuda_frame_nhwcIN3c108BFloat16EfiEEvT1_PKT_llliiiiiiiiPS6_ibb,"axG",@progbits,_ZN2at6native12_GLOBAL__N_139avg_pool2d_backward_out_cuda_frame_nhwcIN3c108BFloat16EfiEEvT1_PKT_llliiiiiiiiPS6_ibb,comdat
	.globl	_ZN2at6native12_GLOBAL__N_139avg_pool2d_backward_out_cuda_frame_nhwcIN3c108BFloat16EfiEEvT1_PKT_llliiiiiiiiPS6_ibb ; -- Begin function _ZN2at6native12_GLOBAL__N_139avg_pool2d_backward_out_cuda_frame_nhwcIN3c108BFloat16EfiEEvT1_PKT_llliiiiiiiiPS6_ibb
	.p2align	8
	.type	_ZN2at6native12_GLOBAL__N_139avg_pool2d_backward_out_cuda_frame_nhwcIN3c108BFloat16EfiEEvT1_PKT_llliiiiiiiiPS6_ibb,@function
_ZN2at6native12_GLOBAL__N_139avg_pool2d_backward_out_cuda_frame_nhwcIN3c108BFloat16EfiEEvT1_PKT_llliiiiiiiiPS6_ibb: ; @_ZN2at6native12_GLOBAL__N_139avg_pool2d_backward_out_cuda_frame_nhwcIN3c108BFloat16EfiEEvT1_PKT_llliiiiiiiiPS6_ibb
; %bb.0:
	s_clause 0x1
	s_load_b32 s24, s[0:1], 0x0
	s_load_b32 s2, s[0:1], 0x64
	s_bfe_u32 s3, ttmp6, 0x4000c
	v_mov_b32_e32 v2, 0
	s_add_co_i32 s3, s3, 1
	s_and_b32 s4, ttmp6, 15
	s_mul_i32 s3, ttmp9, s3
	s_getreg_b32 s5, hwreg(HW_REG_IB_STS2, 6, 4)
	v_mov_b32_e32 v1, v2
	s_add_co_i32 s4, s4, s3
	s_wait_kmcnt 0x0
	s_ashr_i32 s25, s24, 31
	s_and_b32 s2, s2, 0xffff
	s_cmp_eq_u32 s5, 0
	s_cselect_b32 s3, ttmp9, s4
	s_mov_b32 s4, exec_lo
	v_mad_nc_u64_u32 v[0:1], s2, s3, v[0:1]
	s_mov_b32 s3, 0
	s_delay_alu instid0(VALU_DEP_1)
	v_cmpx_gt_i64_e64 s[24:25], v[0:1]
	s_cbranch_execz .LBB20_29
; %bb.1:
	s_clause 0x2
	s_load_b128 s[20:23], s[0:1], 0x48
	s_load_b256 s[4:11], s[0:1], 0x28
	s_load_b256 s[12:19], s[0:1], 0x8
	s_add_nc_u64 s[26:27], s[0:1], 0x58
	s_load_b32 s28, s[0:1], 0x54
	s_load_b32 s30, s[26:27], 0x0
	s_wait_xcnt 0x0
	s_mov_b32 s27, s3
	s_mov_b32 s29, s3
	;; [unrolled: 1-line block ×3, first 2 shown]
	s_mov_b64 s[34:35], 0xffffffff
	s_mov_b32 s51, 0
	s_wait_kmcnt 0x0
	s_bitcmp1_b32 s23, 0
	s_mov_b32 s38, s4
	s_cselect_b32 s0, -1, 0
	s_bitcmp1_b32 s28, 8
	s_mul_i32 s26, s30, s2
	s_cselect_b32 s23, -1, 0
	s_abs_i32 s33, s8
	s_abs_i32 s44, s9
	s_cvt_f32_u32 s1, s33
	s_cvt_f32_u32 s2, s44
	v_cvt_f32_u32_e32 v3, s14
	s_sub_co_i32 s28, 0, s33
	v_rcp_iflag_f32_e32 v4, s1
	v_rcp_iflag_f32_e32 v5, s2
	s_sub_co_i32 s30, 0, s44
	v_rcp_iflag_f32_e32 v3, v3
	s_ashr_i32 s39, s4, 31
	s_mov_b32 s40, s5
	s_ashr_i32 s41, s5, 31
	v_readfirstlane_b32 s1, v4
	v_readfirstlane_b32 s2, v5
	s_mul_u64 s[38:39], s[14:15], s[38:39]
	v_mul_f32_e32 v3, 0x4f7ffffe, v3
	s_add_co_i32 s45, s10, s16
	s_mul_f32 s1, s1, 0x4f7ffffe
	s_mul_f32 s2, s2, 0x4f7ffffe
	s_add_co_i32 s46, s11, s18
	v_cvt_u32_f32_e32 v10, v3
	s_cvt_u32_f32 s1, s1
	s_cvt_u32_f32 s2, s2
	s_ashr_i32 s47, s8, 31
	s_ashr_i32 s48, s9, 31
	s_mul_i32 s28, s28, s1
	s_mul_i32 s30, s30, s2
	s_mul_hi_u32 s28, s1, s28
	s_mul_hi_u32 s30, s2, s30
	s_sub_co_i32 s49, 0, s11
	s_sub_co_i32 s50, s7, s11
	s_ashr_i32 s36, s15, 31
	s_mul_u64 s[38:39], s[38:39], s[40:41]
	s_add_co_i32 s28, s1, s28
	s_add_co_i32 s30, s2, s30
	s_branch .LBB20_4
.LBB20_2:                               ;   in Loop: Header=BB20_4 Depth=1
	s_or_b32 exec_lo, exec_lo, s40
.LBB20_3:                               ;   in Loop: Header=BB20_4 Depth=1
	s_delay_alu instid0(SALU_CYCLE_1) | instskip(SKIP_4) | instid1(VALU_DEP_4)
	s_or_b32 exec_lo, exec_lo, s37
	v_bfe_u32 v3, v11, 16, 1
	v_lshl_add_u64 v[4:5], v[0:1], 1, s[20:21]
	v_add_nc_u64_e32 v[0:1], s[26:27], v[0:1]
	v_cmp_o_f32_e64 s1, v11, v11
	v_add3_u32 v3, v11, v3, 0x7fff
	s_delay_alu instid0(VALU_DEP_3) | instskip(NEXT) | instid1(VALU_DEP_2)
	v_cmp_le_i64_e32 vcc_lo, s[24:25], v[0:1]
	v_lshrrev_b32_e32 v3, 16, v3
	s_delay_alu instid0(VALU_DEP_1)
	v_cndmask_b32_e64 v3, 0x7fc0, v3, s1
	s_or_b32 s51, vcc_lo, s51
	global_store_b16 v[4:5], v3, off
	s_wait_xcnt 0x0
	s_and_not1_b32 exec_lo, exec_lo, s51
	s_cbranch_execz .LBB20_29
.LBB20_4:                               ; =>This Loop Header: Depth=1
                                        ;     Child Loop BB20_24 Depth 2
                                        ;       Child Loop BB20_27 Depth 3
	v_or_b32_e32 v3, s15, v1
                                        ; implicit-def: $vgpr4_vgpr5
	s_mov_b32 s1, exec_lo
	s_delay_alu instid0(VALU_DEP_1)
	v_cmpx_ne_u64_e32 0, v[2:3]
	s_xor_b32 s42, exec_lo, s1
	s_cbranch_execz .LBB20_6
; %bb.5:                                ;   in Loop: Header=BB20_4 Depth=1
	s_mov_b32 s37, s36
	v_dual_mov_b32 v9, v2 :: v_dual_ashrrev_i32 v4, 31, v1
	s_add_nc_u64 s[40:41], s[14:15], s[36:37]
	v_mov_b32_e32 v19, v2
	s_xor_b64 s[40:41], s[40:41], s[36:37]
	s_delay_alu instid0(VALU_DEP_2) | instskip(SKIP_3) | instid1(VALU_DEP_1)
	v_mov_b32_e32 v5, v4
	s_cvt_f32_u32 s1, s40
	s_cvt_f32_u32 s2, s41
	s_sub_nc_u64 s[54:55], 0, s[40:41]
	v_add_nc_u64_e32 v[6:7], v[0:1], v[4:5]
	s_delay_alu instid0(SALU_CYCLE_1) | instskip(SKIP_1) | instid1(SALU_CYCLE_2)
	s_fmamk_f32 s1, s2, 0x4f800000, s1
	v_mov_b32_e32 v15, v2
	v_s_rcp_f32 s1, s1
	s_delay_alu instid0(VALU_DEP_2) | instskip(NEXT) | instid1(VALU_DEP_3)
	v_xor_b32_e32 v8, v6, v4
	v_xor_b32_e32 v14, v7, v4
	;; [unrolled: 1-line block ×3, first 2 shown]
	s_delay_alu instid0(TRANS32_DEP_1) | instskip(NEXT) | instid1(SALU_CYCLE_3)
	s_mul_f32 s1, s1, 0x5f7ffffc
	s_mul_f32 s2, s1, 0x2f800000
	s_delay_alu instid0(SALU_CYCLE_3) | instskip(NEXT) | instid1(SALU_CYCLE_3)
	s_trunc_f32 s2, s2
	s_fmamk_f32 s1, s2, 0xcf800000, s1
	s_cvt_u32_f32 s53, s2
	s_delay_alu instid0(SALU_CYCLE_2) | instskip(NEXT) | instid1(SALU_CYCLE_3)
	s_cvt_u32_f32 s52, s1
	s_mul_u64 s[56:57], s[54:55], s[52:53]
	s_delay_alu instid0(SALU_CYCLE_1)
	s_mul_hi_u32 s59, s52, s57
	s_mul_i32 s58, s52, s57
	s_mul_hi_u32 s2, s52, s56
	s_mul_i32 s37, s53, s56
	s_add_nc_u64 s[58:59], s[2:3], s[58:59]
	s_mul_hi_u32 s1, s53, s56
	s_mul_hi_u32 s43, s53, s57
	s_add_co_u32 s2, s58, s37
	s_add_co_ci_u32 s2, s59, s1
	s_mul_i32 s56, s53, s57
	s_add_co_ci_u32 s57, s43, 0
	s_delay_alu instid0(SALU_CYCLE_1) | instskip(NEXT) | instid1(SALU_CYCLE_1)
	s_add_nc_u64 s[56:57], s[2:3], s[56:57]
	s_add_co_u32 s52, s52, s56
	s_cselect_b32 s1, -1, 0
	s_delay_alu instid0(SALU_CYCLE_1) | instskip(SKIP_1) | instid1(SALU_CYCLE_1)
	s_cmp_lg_u32 s1, 0
	s_add_co_ci_u32 s53, s53, s57
	s_mul_u64 s[54:55], s[54:55], s[52:53]
	s_delay_alu instid0(SALU_CYCLE_1)
	s_mul_hi_u32 s57, s52, s55
	s_mul_i32 s56, s52, s55
	s_mul_hi_u32 s2, s52, s54
	s_mul_i32 s37, s53, s54
	s_add_nc_u64 s[56:57], s[2:3], s[56:57]
	s_mul_hi_u32 s1, s53, s54
	s_mul_hi_u32 s43, s53, s55
	s_add_co_u32 s2, s56, s37
	s_add_co_ci_u32 s2, s57, s1
	s_mul_i32 s54, s53, s55
	s_add_co_ci_u32 s55, s43, 0
	s_delay_alu instid0(SALU_CYCLE_1) | instskip(NEXT) | instid1(SALU_CYCLE_1)
	s_add_nc_u64 s[54:55], s[2:3], s[54:55]
	s_add_co_u32 s52, s52, s54
	s_cselect_b32 s1, -1, 0
	v_mul_hi_u32 v18, v8, s52
	s_cmp_lg_u32 s1, 0
	s_add_co_ci_u32 s2, s53, s55
	s_and_b64 s[54:55], s[52:53], s[34:35]
	v_mul_u64_e32 v[12:13], s[2:3], v[8:9]
	v_mul_u64_e32 v[6:7], s[54:55], v[14:15]
	;; [unrolled: 1-line block ×3, first 2 shown]
	s_delay_alu instid0(VALU_DEP_3) | instskip(NEXT) | instid1(VALU_DEP_1)
	v_add_nc_u64_e32 v[12:13], v[18:19], v[12:13]
	v_add_co_u32 v3, vcc_lo, v12, v6
	s_delay_alu instid0(VALU_DEP_2) | instskip(NEXT) | instid1(VALU_DEP_4)
	v_add_co_ci_u32_e32 v18, vcc_lo, v13, v7, vcc_lo
	v_add_co_ci_u32_e32 v17, vcc_lo, 0, v17, vcc_lo
	s_delay_alu instid0(VALU_DEP_1) | instskip(NEXT) | instid1(VALU_DEP_1)
	v_add_nc_u64_e32 v[6:7], v[18:19], v[16:17]
	v_mul_u64_e32 v[12:13], s[40:41], v[6:7]
	s_delay_alu instid0(VALU_DEP_1) | instskip(NEXT) | instid1(VALU_DEP_2)
	v_sub_nc_u32_e32 v3, v14, v13
	v_sub_co_u32 v5, vcc_lo, v8, v12
	s_delay_alu instid0(VALU_DEP_1) | instskip(NEXT) | instid1(VALU_DEP_3)
	v_sub_co_ci_u32_e64 v11, null, v14, v13, vcc_lo
	v_subrev_co_ci_u32_e64 v3, null, s41, v3, vcc_lo
	s_delay_alu instid0(VALU_DEP_3) | instskip(SKIP_1) | instid1(VALU_DEP_3)
	v_sub_co_u32 v8, s1, v5, s40
	v_add_nc_u64_e32 v[12:13], 1, v[6:7]
	v_subrev_co_ci_u32_e64 v3, null, 0, v3, s1
	s_delay_alu instid0(VALU_DEP_3) | instskip(SKIP_1) | instid1(VALU_DEP_3)
	v_cmp_le_u32_e32 vcc_lo, s40, v8
	v_cndmask_b32_e64 v8, 0, -1, vcc_lo
	v_cmp_le_u32_e32 vcc_lo, s41, v3
	v_cndmask_b32_e64 v9, 0, -1, vcc_lo
	;; [unrolled: 2-line block ×4, first 2 shown]
	v_cmp_eq_u32_e32 vcc_lo, s41, v3
	v_cndmask_b32_e32 v3, v9, v8, vcc_lo
	v_cmp_eq_u32_e32 vcc_lo, s41, v11
	v_add_nc_u64_e32 v[8:9], 2, v[6:7]
	v_cndmask_b32_e32 v5, v14, v5, vcc_lo
	s_delay_alu instid0(VALU_DEP_4) | instskip(NEXT) | instid1(VALU_DEP_2)
	v_cmp_ne_u32_e32 vcc_lo, 0, v3
	v_cmp_ne_u32_e64 s1, 0, v5
	s_delay_alu instid0(VALU_DEP_4) | instskip(NEXT) | instid1(VALU_DEP_1)
	v_dual_cndmask_b32 v3, v13, v9, vcc_lo :: v_dual_cndmask_b32 v5, v12, v8, vcc_lo
	v_dual_cndmask_b32 v6, v6, v5, s1 :: v_dual_mov_b32 v5, v4
	s_delay_alu instid0(VALU_DEP_1) | instskip(NEXT) | instid1(VALU_DEP_1)
	v_dual_cndmask_b32 v3, v7, v3, s1 :: v_dual_bitop2_b32 v6, v6, v4 bitop3:0x14
	v_xor_b32_e32 v7, v3, v4
	s_delay_alu instid0(VALU_DEP_1)
	v_sub_nc_u64_e32 v[4:5], v[6:7], v[4:5]
.LBB20_6:                               ;   in Loop: Header=BB20_4 Depth=1
	s_and_not1_saveexec_b32 s1, s42
	s_cbranch_execz .LBB20_8
; %bb.7:                                ;   in Loop: Header=BB20_4 Depth=1
	s_sub_co_i32 s2, 0, s14
	s_delay_alu instid0(SALU_CYCLE_1) | instskip(NEXT) | instid1(VALU_DEP_1)
	v_mul_lo_u32 v3, s2, v10
	v_mul_hi_u32 v3, v10, v3
	s_delay_alu instid0(VALU_DEP_1) | instskip(NEXT) | instid1(VALU_DEP_1)
	v_add_nc_u32_e32 v3, v10, v3
	v_mul_hi_u32 v3, v0, v3
	s_delay_alu instid0(VALU_DEP_1) | instskip(NEXT) | instid1(VALU_DEP_1)
	v_mul_lo_u32 v4, v3, s14
	v_sub_nc_u32_e32 v4, v0, v4
	s_delay_alu instid0(VALU_DEP_1) | instskip(SKIP_1) | instid1(VALU_DEP_2)
	v_subrev_nc_u32_e32 v6, s14, v4
	v_cmp_le_u32_e32 vcc_lo, s14, v4
	v_dual_cndmask_b32 v4, v4, v6 :: v_dual_add_nc_u32 v5, 1, v3
	s_delay_alu instid0(VALU_DEP_1) | instskip(NEXT) | instid1(VALU_DEP_2)
	v_cndmask_b32_e32 v3, v3, v5, vcc_lo
	v_cmp_le_u32_e32 vcc_lo, s14, v4
	s_delay_alu instid0(VALU_DEP_2) | instskip(NEXT) | instid1(VALU_DEP_1)
	v_add_nc_u32_e32 v5, 1, v3
	v_dual_cndmask_b32 v4, v3, v5 :: v_dual_mov_b32 v5, v2
.LBB20_8:                               ;   in Loop: Header=BB20_4 Depth=1
	s_or_b32 exec_lo, exec_lo, s1
	s_delay_alu instid0(VALU_DEP_1) | instskip(SKIP_1) | instid1(VALU_DEP_1)
	v_or_b32_e32 v3, s19, v5
                                        ; implicit-def: $vgpr6_vgpr7
	s_mov_b32 s1, exec_lo
	v_cmpx_ne_u64_e32 0, v[2:3]
	s_xor_b32 s37, exec_lo, s1
	s_cbranch_execz .LBB20_10
; %bb.9:                                ;   in Loop: Header=BB20_4 Depth=1
	s_ashr_i32 s40, s19, 31
	v_dual_mov_b32 v13, v2 :: v_dual_ashrrev_i32 v6, 31, v5
	s_mov_b32 s41, s40
	s_delay_alu instid0(SALU_CYCLE_1) | instskip(NEXT) | instid1(VALU_DEP_1)
	s_add_nc_u64 s[42:43], s[18:19], s[40:41]
	v_mov_b32_e32 v7, v6
	s_xor_b64 s[42:43], s[42:43], s[40:41]
	s_delay_alu instid0(SALU_CYCLE_1)
	s_cvt_f32_u32 s1, s42
	s_cvt_f32_u32 s2, s43
	s_sub_nc_u64 s[54:55], 0, s[42:43]
	v_add_nc_u64_e32 v[8:9], v[4:5], v[6:7]
	v_mov_b32_e32 v17, v2
	s_fmamk_f32 s1, s2, 0x4f800000, s1
	s_delay_alu instid0(SALU_CYCLE_3) | instskip(NEXT) | instid1(VALU_DEP_2)
	v_s_rcp_f32 s1, s1
	v_xor_b32_e32 v12, v8, v6
	s_delay_alu instid0(VALU_DEP_3) | instskip(NEXT) | instid1(TRANS32_DEP_1)
	v_dual_mov_b32 v21, v2 :: v_dual_bitop2_b32 v16, v9, v6 bitop3:0x14
	s_mul_f32 s1, s1, 0x5f7ffffc
	s_delay_alu instid0(SALU_CYCLE_3) | instskip(NEXT) | instid1(SALU_CYCLE_3)
	s_mul_f32 s2, s1, 0x2f800000
	s_trunc_f32 s2, s2
	s_delay_alu instid0(SALU_CYCLE_3) | instskip(SKIP_1) | instid1(SALU_CYCLE_2)
	s_fmamk_f32 s1, s2, 0xcf800000, s1
	s_cvt_u32_f32 s53, s2
	s_cvt_u32_f32 s52, s1
	s_delay_alu instid0(SALU_CYCLE_3) | instskip(NEXT) | instid1(SALU_CYCLE_1)
	s_mul_u64 s[56:57], s[54:55], s[52:53]
	s_mul_hi_u32 s59, s52, s57
	s_mul_i32 s58, s52, s57
	s_mul_hi_u32 s2, s52, s56
	s_mul_i32 s41, s53, s56
	s_add_nc_u64 s[58:59], s[2:3], s[58:59]
	s_mul_hi_u32 s1, s53, s56
	s_mul_hi_u32 s60, s53, s57
	s_add_co_u32 s2, s58, s41
	s_add_co_ci_u32 s2, s59, s1
	s_mul_i32 s56, s53, s57
	s_add_co_ci_u32 s57, s60, 0
	s_delay_alu instid0(SALU_CYCLE_1) | instskip(NEXT) | instid1(SALU_CYCLE_1)
	s_add_nc_u64 s[56:57], s[2:3], s[56:57]
	s_add_co_u32 s52, s52, s56
	s_cselect_b32 s1, -1, 0
	s_delay_alu instid0(SALU_CYCLE_1) | instskip(SKIP_1) | instid1(SALU_CYCLE_1)
	s_cmp_lg_u32 s1, 0
	s_add_co_ci_u32 s53, s53, s57
	s_mul_u64 s[54:55], s[54:55], s[52:53]
	s_delay_alu instid0(SALU_CYCLE_1)
	s_mul_hi_u32 s57, s52, s55
	s_mul_i32 s56, s52, s55
	s_mul_hi_u32 s2, s52, s54
	s_mul_i32 s41, s53, s54
	s_add_nc_u64 s[56:57], s[2:3], s[56:57]
	s_mul_hi_u32 s1, s53, s54
	s_mul_hi_u32 s58, s53, s55
	s_add_co_u32 s2, s56, s41
	s_add_co_ci_u32 s2, s57, s1
	s_mul_i32 s54, s53, s55
	s_add_co_ci_u32 s55, s58, 0
	s_delay_alu instid0(SALU_CYCLE_1) | instskip(NEXT) | instid1(SALU_CYCLE_1)
	s_add_nc_u64 s[54:55], s[2:3], s[54:55]
	s_add_co_u32 s52, s52, s54
	s_cselect_b32 s1, -1, 0
	v_mul_hi_u32 v20, v12, s52
	s_cmp_lg_u32 s1, 0
	s_add_co_ci_u32 s2, s53, s55
	s_and_b64 s[54:55], s[52:53], s[34:35]
	v_mul_u64_e32 v[14:15], s[2:3], v[12:13]
	v_mul_u64_e32 v[8:9], s[54:55], v[16:17]
	;; [unrolled: 1-line block ×3, first 2 shown]
	s_delay_alu instid0(VALU_DEP_3) | instskip(NEXT) | instid1(VALU_DEP_1)
	v_add_nc_u64_e32 v[14:15], v[20:21], v[14:15]
	v_add_co_u32 v3, vcc_lo, v14, v8
	s_delay_alu instid0(VALU_DEP_2) | instskip(NEXT) | instid1(VALU_DEP_4)
	v_add_co_ci_u32_e32 v20, vcc_lo, v15, v9, vcc_lo
	v_add_co_ci_u32_e32 v19, vcc_lo, 0, v19, vcc_lo
	s_delay_alu instid0(VALU_DEP_1) | instskip(NEXT) | instid1(VALU_DEP_1)
	v_add_nc_u64_e32 v[8:9], v[20:21], v[18:19]
	v_mul_u64_e32 v[14:15], s[42:43], v[8:9]
	s_delay_alu instid0(VALU_DEP_1) | instskip(NEXT) | instid1(VALU_DEP_2)
	v_sub_nc_u32_e32 v3, v16, v15
	v_sub_co_u32 v7, vcc_lo, v12, v14
	s_delay_alu instid0(VALU_DEP_1) | instskip(NEXT) | instid1(VALU_DEP_3)
	v_sub_co_ci_u32_e64 v16, null, v16, v15, vcc_lo
	v_subrev_co_ci_u32_e64 v3, null, s43, v3, vcc_lo
	s_delay_alu instid0(VALU_DEP_3) | instskip(SKIP_1) | instid1(VALU_DEP_3)
	v_sub_co_u32 v11, s1, v7, s42
	v_add_nc_u64_e32 v[14:15], 1, v[8:9]
	v_subrev_co_ci_u32_e64 v3, null, 0, v3, s1
	s_delay_alu instid0(VALU_DEP_3) | instskip(SKIP_1) | instid1(VALU_DEP_3)
	v_cmp_le_u32_e32 vcc_lo, s42, v11
	v_cndmask_b32_e64 v11, 0, -1, vcc_lo
	v_cmp_le_u32_e32 vcc_lo, s43, v3
	v_cndmask_b32_e64 v12, 0, -1, vcc_lo
	;; [unrolled: 2-line block ×4, first 2 shown]
	v_cmp_eq_u32_e32 vcc_lo, s43, v3
	v_cndmask_b32_e32 v3, v12, v11, vcc_lo
	v_cmp_eq_u32_e32 vcc_lo, s43, v16
	v_add_nc_u64_e32 v[12:13], 2, v[8:9]
	v_cndmask_b32_e32 v7, v17, v7, vcc_lo
	s_delay_alu instid0(VALU_DEP_4) | instskip(NEXT) | instid1(VALU_DEP_3)
	v_cmp_ne_u32_e32 vcc_lo, 0, v3
	v_cndmask_b32_e32 v3, v15, v13, vcc_lo
	s_delay_alu instid0(VALU_DEP_3) | instskip(SKIP_1) | instid1(VALU_DEP_2)
	v_cmp_ne_u32_e64 s1, 0, v7
	v_dual_cndmask_b32 v7, v14, v12, vcc_lo :: v_dual_bitop2_b32 v6, s40, v6 bitop3:0x14
	v_cndmask_b32_e64 v3, v9, v3, s1
	s_delay_alu instid0(VALU_DEP_2) | instskip(NEXT) | instid1(VALU_DEP_2)
	v_dual_cndmask_b32 v8, v8, v7, s1 :: v_dual_mov_b32 v7, v6
	v_xor_b32_e32 v9, v3, v6
	s_delay_alu instid0(VALU_DEP_2) | instskip(NEXT) | instid1(VALU_DEP_1)
	v_xor_b32_e32 v8, v8, v6
	v_sub_nc_u64_e32 v[6:7], v[8:9], v[6:7]
.LBB20_10:                              ;   in Loop: Header=BB20_4 Depth=1
	s_and_not1_saveexec_b32 s1, s37
	s_cbranch_execz .LBB20_12
; %bb.11:                               ;   in Loop: Header=BB20_4 Depth=1
	v_cvt_f32_u32_e32 v3, s18
	s_sub_co_i32 s2, 0, s18
	s_delay_alu instid0(VALU_DEP_1) | instskip(SKIP_1) | instid1(TRANS32_DEP_1)
	v_rcp_iflag_f32_e32 v3, v3
	v_nop
	v_mul_f32_e32 v3, 0x4f7ffffe, v3
	s_delay_alu instid0(VALU_DEP_1) | instskip(NEXT) | instid1(VALU_DEP_1)
	v_cvt_u32_f32_e32 v3, v3
	v_mul_lo_u32 v6, s2, v3
	s_delay_alu instid0(VALU_DEP_1) | instskip(NEXT) | instid1(VALU_DEP_1)
	v_mul_hi_u32 v6, v3, v6
	v_add_nc_u32_e32 v3, v3, v6
	s_delay_alu instid0(VALU_DEP_1) | instskip(NEXT) | instid1(VALU_DEP_1)
	v_mul_hi_u32 v3, v4, v3
	v_mul_lo_u32 v6, v3, s18
	s_delay_alu instid0(VALU_DEP_1) | instskip(NEXT) | instid1(VALU_DEP_1)
	v_dual_add_nc_u32 v7, 1, v3 :: v_dual_sub_nc_u32 v6, v4, v6
	v_subrev_nc_u32_e32 v8, s18, v6
	v_cmp_le_u32_e32 vcc_lo, s18, v6
	s_delay_alu instid0(VALU_DEP_2) | instskip(NEXT) | instid1(VALU_DEP_1)
	v_dual_cndmask_b32 v6, v6, v8 :: v_dual_cndmask_b32 v3, v3, v7
	v_cmp_le_u32_e32 vcc_lo, s18, v6
	s_delay_alu instid0(VALU_DEP_2) | instskip(NEXT) | instid1(VALU_DEP_1)
	v_add_nc_u32_e32 v7, 1, v3
	v_dual_cndmask_b32 v6, v3, v7 :: v_dual_mov_b32 v7, v2
.LBB20_12:                              ;   in Loop: Header=BB20_4 Depth=1
	s_or_b32 exec_lo, exec_lo, s1
	s_delay_alu instid0(VALU_DEP_1) | instskip(SKIP_1) | instid1(VALU_DEP_1)
	v_or_b32_e32 v3, s17, v7
                                        ; implicit-def: $vgpr8_vgpr9
	s_mov_b32 s1, exec_lo
	v_cmpx_ne_u64_e32 0, v[2:3]
	s_xor_b32 s37, exec_lo, s1
	s_cbranch_execz .LBB20_14
; %bb.13:                               ;   in Loop: Header=BB20_4 Depth=1
	s_ashr_i32 s40, s17, 31
	v_dual_mov_b32 v15, v2 :: v_dual_ashrrev_i32 v8, 31, v7
	s_mov_b32 s41, s40
	v_mov_b32_e32 v19, v2
	s_add_nc_u64 s[42:43], s[16:17], s[40:41]
	s_delay_alu instid0(VALU_DEP_2)
	v_mov_b32_e32 v9, v8
	s_xor_b64 s[42:43], s[42:43], s[40:41]
	v_mov_b32_e32 v23, v2
	s_cvt_f32_u32 s1, s42
	s_cvt_f32_u32 s2, s43
	s_sub_nc_u64 s[54:55], 0, s[42:43]
	v_add_nc_u64_e32 v[12:13], v[6:7], v[8:9]
	s_delay_alu instid0(SALU_CYCLE_1) | instskip(NEXT) | instid1(SALU_CYCLE_3)
	s_fmamk_f32 s1, s2, 0x4f800000, s1
	v_s_rcp_f32 s1, s1
	s_delay_alu instid0(VALU_DEP_1) | instskip(NEXT) | instid1(VALU_DEP_2)
	v_xor_b32_e32 v14, v12, v8
	v_xor_b32_e32 v18, v13, v8
	s_delay_alu instid0(TRANS32_DEP_1) | instskip(NEXT) | instid1(SALU_CYCLE_3)
	s_mul_f32 s1, s1, 0x5f7ffffc
	s_mul_f32 s2, s1, 0x2f800000
	s_delay_alu instid0(SALU_CYCLE_3) | instskip(NEXT) | instid1(SALU_CYCLE_3)
	s_trunc_f32 s2, s2
	s_fmamk_f32 s1, s2, 0xcf800000, s1
	s_cvt_u32_f32 s53, s2
	s_delay_alu instid0(SALU_CYCLE_2) | instskip(NEXT) | instid1(SALU_CYCLE_3)
	s_cvt_u32_f32 s52, s1
	s_mul_u64 s[56:57], s[54:55], s[52:53]
	s_delay_alu instid0(SALU_CYCLE_1)
	s_mul_hi_u32 s59, s52, s57
	s_mul_i32 s58, s52, s57
	s_mul_hi_u32 s2, s52, s56
	s_mul_i32 s41, s53, s56
	s_add_nc_u64 s[58:59], s[2:3], s[58:59]
	s_mul_hi_u32 s1, s53, s56
	s_mul_hi_u32 s60, s53, s57
	s_add_co_u32 s2, s58, s41
	s_add_co_ci_u32 s2, s59, s1
	s_mul_i32 s56, s53, s57
	s_add_co_ci_u32 s57, s60, 0
	s_delay_alu instid0(SALU_CYCLE_1) | instskip(NEXT) | instid1(SALU_CYCLE_1)
	s_add_nc_u64 s[56:57], s[2:3], s[56:57]
	s_add_co_u32 s52, s52, s56
	s_cselect_b32 s1, -1, 0
	s_delay_alu instid0(SALU_CYCLE_1) | instskip(SKIP_1) | instid1(SALU_CYCLE_1)
	s_cmp_lg_u32 s1, 0
	s_add_co_ci_u32 s53, s53, s57
	s_mul_u64 s[54:55], s[54:55], s[52:53]
	s_delay_alu instid0(SALU_CYCLE_1)
	s_mul_hi_u32 s57, s52, s55
	s_mul_i32 s56, s52, s55
	s_mul_hi_u32 s2, s52, s54
	s_mul_i32 s41, s53, s54
	s_add_nc_u64 s[56:57], s[2:3], s[56:57]
	s_mul_hi_u32 s1, s53, s54
	s_mul_hi_u32 s58, s53, s55
	s_add_co_u32 s2, s56, s41
	s_add_co_ci_u32 s2, s57, s1
	s_mul_i32 s54, s53, s55
	s_add_co_ci_u32 s55, s58, 0
	s_delay_alu instid0(SALU_CYCLE_1) | instskip(NEXT) | instid1(SALU_CYCLE_1)
	s_add_nc_u64 s[54:55], s[2:3], s[54:55]
	s_add_co_u32 s52, s52, s54
	s_cselect_b32 s1, -1, 0
	v_mul_hi_u32 v22, v14, s52
	s_cmp_lg_u32 s1, 0
	s_add_co_ci_u32 s2, s53, s55
	s_and_b64 s[54:55], s[52:53], s[34:35]
	v_mul_u64_e32 v[16:17], s[2:3], v[14:15]
	v_mul_u64_e32 v[12:13], s[54:55], v[18:19]
	;; [unrolled: 1-line block ×3, first 2 shown]
	s_delay_alu instid0(VALU_DEP_3) | instskip(NEXT) | instid1(VALU_DEP_1)
	v_add_nc_u64_e32 v[16:17], v[22:23], v[16:17]
	v_add_co_u32 v3, vcc_lo, v16, v12
	s_delay_alu instid0(VALU_DEP_2) | instskip(NEXT) | instid1(VALU_DEP_4)
	v_add_co_ci_u32_e32 v22, vcc_lo, v17, v13, vcc_lo
	v_add_co_ci_u32_e32 v21, vcc_lo, 0, v21, vcc_lo
	s_delay_alu instid0(VALU_DEP_1) | instskip(NEXT) | instid1(VALU_DEP_1)
	v_add_nc_u64_e32 v[12:13], v[22:23], v[20:21]
	v_mul_u64_e32 v[16:17], s[42:43], v[12:13]
	s_delay_alu instid0(VALU_DEP_1) | instskip(NEXT) | instid1(VALU_DEP_2)
	v_sub_nc_u32_e32 v3, v18, v17
	v_sub_co_u32 v7, vcc_lo, v14, v16
	s_delay_alu instid0(VALU_DEP_1) | instskip(NEXT) | instid1(VALU_DEP_3)
	v_sub_co_ci_u32_e64 v11, null, v18, v17, vcc_lo
	v_subrev_co_ci_u32_e64 v3, null, s43, v3, vcc_lo
	s_delay_alu instid0(VALU_DEP_3) | instskip(SKIP_1) | instid1(VALU_DEP_3)
	v_sub_co_u32 v9, s1, v7, s42
	v_add_nc_u64_e32 v[16:17], 1, v[12:13]
	v_subrev_co_ci_u32_e64 v3, null, 0, v3, s1
	s_delay_alu instid0(VALU_DEP_3) | instskip(SKIP_1) | instid1(VALU_DEP_3)
	v_cmp_le_u32_e32 vcc_lo, s42, v9
	v_cndmask_b32_e64 v9, 0, -1, vcc_lo
	v_cmp_le_u32_e32 vcc_lo, s43, v3
	v_cndmask_b32_e64 v14, 0, -1, vcc_lo
	;; [unrolled: 2-line block ×4, first 2 shown]
	v_cmp_eq_u32_e32 vcc_lo, s43, v3
	v_cndmask_b32_e32 v3, v14, v9, vcc_lo
	v_cmp_eq_u32_e32 vcc_lo, s43, v11
	v_add_nc_u64_e32 v[14:15], 2, v[12:13]
	v_cndmask_b32_e32 v7, v18, v7, vcc_lo
	s_delay_alu instid0(VALU_DEP_4) | instskip(NEXT) | instid1(VALU_DEP_2)
	v_cmp_ne_u32_e32 vcc_lo, 0, v3
	v_cmp_ne_u32_e64 s1, 0, v7
	s_delay_alu instid0(VALU_DEP_4) | instskip(NEXT) | instid1(VALU_DEP_1)
	v_dual_cndmask_b32 v3, v17, v15, vcc_lo :: v_dual_cndmask_b32 v7, v16, v14, vcc_lo
	v_dual_cndmask_b32 v3, v13, v3, s1 :: v_dual_bitop2_b32 v8, s40, v8 bitop3:0x14
	s_delay_alu instid0(VALU_DEP_1) | instskip(NEXT) | instid1(VALU_DEP_1)
	v_dual_cndmask_b32 v7, v12, v7, s1 :: v_dual_bitop2_b32 v13, v3, v8 bitop3:0x14
	v_dual_mov_b32 v9, v8 :: v_dual_bitop2_b32 v12, v7, v8 bitop3:0x14
	s_delay_alu instid0(VALU_DEP_1)
	v_sub_nc_u64_e32 v[8:9], v[12:13], v[8:9]
.LBB20_14:                              ;   in Loop: Header=BB20_4 Depth=1
	s_and_not1_saveexec_b32 s1, s37
	s_cbranch_execz .LBB20_16
; %bb.15:                               ;   in Loop: Header=BB20_4 Depth=1
	v_cvt_f32_u32_e32 v3, s16
	s_sub_co_i32 s2, 0, s16
	s_delay_alu instid0(VALU_DEP_1) | instskip(SKIP_1) | instid1(TRANS32_DEP_1)
	v_rcp_iflag_f32_e32 v3, v3
	v_nop
	v_mul_f32_e32 v3, 0x4f7ffffe, v3
	s_delay_alu instid0(VALU_DEP_1) | instskip(NEXT) | instid1(VALU_DEP_1)
	v_cvt_u32_f32_e32 v3, v3
	v_mul_lo_u32 v7, s2, v3
	s_delay_alu instid0(VALU_DEP_1) | instskip(NEXT) | instid1(VALU_DEP_1)
	v_mul_hi_u32 v7, v3, v7
	v_add_nc_u32_e32 v3, v3, v7
	s_delay_alu instid0(VALU_DEP_1) | instskip(NEXT) | instid1(VALU_DEP_1)
	v_mul_hi_u32 v3, v6, v3
	v_mul_lo_u32 v7, v3, s16
	s_delay_alu instid0(VALU_DEP_1) | instskip(NEXT) | instid1(VALU_DEP_1)
	v_sub_nc_u32_e32 v7, v6, v7
	v_subrev_nc_u32_e32 v9, s16, v7
	v_cmp_le_u32_e32 vcc_lo, s16, v7
	s_delay_alu instid0(VALU_DEP_2) | instskip(NEXT) | instid1(VALU_DEP_1)
	v_dual_cndmask_b32 v7, v7, v9 :: v_dual_add_nc_u32 v8, 1, v3
	v_dual_cndmask_b32 v3, v3, v8, vcc_lo :: v_dual_mov_b32 v9, v2
	s_delay_alu instid0(VALU_DEP_2) | instskip(NEXT) | instid1(VALU_DEP_2)
	v_cmp_le_u32_e32 vcc_lo, s16, v7
	v_add_nc_u32_e32 v8, 1, v3
	s_delay_alu instid0(VALU_DEP_1)
	v_cndmask_b32_e32 v8, v3, v8, vcc_lo
.LBB20_16:                              ;   in Loop: Header=BB20_4 Depth=1
	s_or_b32 exec_lo, exec_lo, s1
	s_delay_alu instid0(VALU_DEP_1) | instskip(SKIP_2) | instid1(VALU_DEP_2)
	v_mul_lo_u32 v3, v8, s16
	v_mov_b32_e32 v7, 0
	s_mov_b32 s1, exec_lo
	v_dual_sub_nc_u32 v11, v6, v3 :: v_dual_mov_b32 v3, 0
	s_delay_alu instid0(VALU_DEP_1)
	v_cmpx_le_i32_e64 s6, v11
	s_cbranch_execz .LBB20_18
; %bb.17:                               ;   in Loop: Header=BB20_4 Depth=1
	v_subrev_nc_u32_e32 v12, s6, v11
	v_mov_b32_e32 v13, v2
	s_delay_alu instid0(VALU_DEP_1) | instskip(NEXT) | instid1(VALU_DEP_1)
	v_mul_u64_e32 v[14:15], s[28:29], v[12:13]
	v_mul_lo_u32 v7, v15, s33
	s_delay_alu instid0(VALU_DEP_1) | instskip(NEXT) | instid1(VALU_DEP_1)
	v_sub_nc_u32_e32 v7, v12, v7
	v_subrev_nc_u32_e32 v13, s33, v7
	v_cmp_le_u32_e32 vcc_lo, s33, v7
	s_delay_alu instid0(VALU_DEP_2) | instskip(NEXT) | instid1(VALU_DEP_1)
	v_dual_cndmask_b32 v7, v7, v13 :: v_dual_add_nc_u32 v12, 1, v15
	v_cndmask_b32_e32 v12, v15, v12, vcc_lo
	s_delay_alu instid0(VALU_DEP_2) | instskip(NEXT) | instid1(VALU_DEP_2)
	v_cmp_le_u32_e32 vcc_lo, s33, v7
	v_add_nc_u32_e32 v13, 1, v12
	s_delay_alu instid0(VALU_DEP_1) | instskip(NEXT) | instid1(VALU_DEP_1)
	v_cndmask_b32_e32 v7, v12, v13, vcc_lo
	v_xor_b32_e32 v7, s47, v7
	s_delay_alu instid0(VALU_DEP_1) | instskip(NEXT) | instid1(VALU_DEP_1)
	v_subrev_nc_u32_e32 v7, s47, v7
	v_add_nc_u32_e32 v7, 1, v7
.LBB20_18:                              ;   in Loop: Header=BB20_4 Depth=1
	s_or_b32 exec_lo, exec_lo, s1
	v_mul_lo_u32 v6, v6, s18
	s_mov_b32 s1, exec_lo
	s_delay_alu instid0(VALU_DEP_1) | instskip(NEXT) | instid1(VALU_DEP_1)
	v_sub_nc_u32_e32 v12, v4, v6
	v_cmpx_le_i32_e64 s7, v12
	s_cbranch_execz .LBB20_20
; %bb.19:                               ;   in Loop: Header=BB20_4 Depth=1
	v_subrev_nc_u32_e32 v14, s7, v12
	v_mov_b32_e32 v15, v2
	s_delay_alu instid0(VALU_DEP_1) | instskip(NEXT) | instid1(VALU_DEP_1)
	v_mul_u64_e32 v[16:17], s[30:31], v[14:15]
	v_mul_lo_u32 v3, v17, s44
	s_delay_alu instid0(VALU_DEP_1) | instskip(NEXT) | instid1(VALU_DEP_1)
	v_dual_add_nc_u32 v6, 1, v17 :: v_dual_sub_nc_u32 v3, v14, v3
	v_cmp_le_u32_e32 vcc_lo, s44, v3
	s_delay_alu instid0(VALU_DEP_2) | instskip(SKIP_1) | instid1(VALU_DEP_1)
	v_cndmask_b32_e32 v6, v17, v6, vcc_lo
	v_subrev_nc_u32_e32 v13, s44, v3
	v_dual_cndmask_b32 v3, v3, v13, vcc_lo :: v_dual_add_nc_u32 v13, 1, v6
	s_delay_alu instid0(VALU_DEP_1) | instskip(NEXT) | instid1(VALU_DEP_2)
	v_cmp_le_u32_e32 vcc_lo, s44, v3
	v_cndmask_b32_e32 v3, v6, v13, vcc_lo
	s_delay_alu instid0(VALU_DEP_1) | instskip(NEXT) | instid1(VALU_DEP_1)
	v_xor_b32_e32 v3, s48, v3
	v_subrev_nc_u32_e32 v3, s48, v3
	s_delay_alu instid0(VALU_DEP_1)
	v_add_nc_u32_e32 v3, 1, v3
.LBB20_20:                              ;   in Loop: Header=BB20_4 Depth=1
	s_or_b32 exec_lo, exec_lo, s1
	v_dual_mov_b32 v15, v2 :: v_dual_sub_nc_u32 v6, 0, v11
	s_mov_b32 s37, exec_lo
	s_delay_alu instid0(VALU_DEP_1) | instskip(NEXT) | instid1(VALU_DEP_1)
	v_max_i32_e32 v14, v11, v6
	v_mul_u64_e32 v[16:17], s[28:29], v[14:15]
	s_delay_alu instid0(VALU_DEP_1) | instskip(NEXT) | instid1(VALU_DEP_1)
	v_mul_lo_u32 v6, v17, s33
	v_dual_add_nc_u32 v13, 1, v17 :: v_dual_sub_nc_u32 v6, v14, v6
	s_delay_alu instid0(VALU_DEP_1) | instskip(NEXT) | instid1(VALU_DEP_2)
	v_cmp_le_u32_e32 vcc_lo, s33, v6
	v_cndmask_b32_e32 v13, v17, v13, vcc_lo
	v_subrev_nc_u32_e32 v14, s33, v6
	s_delay_alu instid0(VALU_DEP_1) | instskip(NEXT) | instid1(VALU_DEP_1)
	v_dual_cndmask_b32 v6, v6, v14 :: v_dual_ashrrev_i32 v11, 31, v11
	v_dual_add_nc_u32 v14, 1, v13 :: v_dual_bitop2_b32 v11, s47, v11 bitop3:0x14
	s_delay_alu instid0(VALU_DEP_2) | instskip(NEXT) | instid1(VALU_DEP_2)
	v_cmp_le_u32_e32 vcc_lo, s33, v6
	v_cndmask_b32_e32 v6, v13, v14, vcc_lo
	s_delay_alu instid0(VALU_DEP_1) | instskip(NEXT) | instid1(VALU_DEP_1)
	v_xor_b32_e32 v6, v6, v11
	v_dual_mov_b32 v11, 0 :: v_dual_sub_nc_u32 v6, v6, v11
	s_delay_alu instid0(VALU_DEP_1) | instskip(NEXT) | instid1(VALU_DEP_1)
	v_add_min_i32_e64 v6, v6, 1, s4
	v_cmpx_lt_i32_e64 v7, v6
	s_cbranch_execz .LBB20_3
; %bb.21:                               ;   in Loop: Header=BB20_4 Depth=1
	v_dual_sub_nc_u32 v11, 0, v12 :: v_dual_mov_b32 v15, v2
	v_mul_u64_e32 v[18:19], s[38:39], v[8:9]
	v_mul_u64_e32 v[4:5], s[14:15], v[4:5]
	s_mov_b32 s40, 0
	s_delay_alu instid0(VALU_DEP_3) | instskip(NEXT) | instid1(VALU_DEP_1)
	v_max_i32_e32 v14, v12, v11
	v_mul_u64_e32 v[16:17], s[30:31], v[14:15]
	s_delay_alu instid0(VALU_DEP_3) | instskip(NEXT) | instid1(VALU_DEP_2)
	v_sub_nc_u64_e32 v[4:5], v[0:1], v[4:5]
	v_mul_lo_u32 v11, v17, s44
	s_delay_alu instid0(VALU_DEP_1) | instskip(NEXT) | instid1(VALU_DEP_1)
	v_dual_add_nc_u32 v9, 1, v17 :: v_dual_sub_nc_u32 v8, v14, v11
	v_cmp_le_u32_e32 vcc_lo, s44, v8
	s_delay_alu instid0(VALU_DEP_2) | instskip(SKIP_3) | instid1(VALU_DEP_3)
	v_cndmask_b32_e32 v9, v17, v9, vcc_lo
	v_subrev_nc_u32_e32 v11, s44, v8
	v_ashrrev_i32_e32 v12, 31, v12
	v_lshl_add_u64 v[16:17], v[18:19], 1, s[12:13]
	v_dual_cndmask_b32 v8, v8, v11 :: v_dual_add_nc_u32 v11, 1, v9
	s_delay_alu instid0(VALU_DEP_3) | instskip(NEXT) | instid1(VALU_DEP_3)
	v_xor_b32_e32 v12, s48, v12
	v_lshl_add_u64 v[4:5], v[4:5], 1, v[16:17]
	s_delay_alu instid0(VALU_DEP_3) | instskip(NEXT) | instid1(VALU_DEP_4)
	v_cmp_le_u32_e32 vcc_lo, s44, v8
	v_cndmask_b32_e32 v8, v9, v11, vcc_lo
	v_mul_lo_u32 v11, s9, v3
	s_delay_alu instid0(VALU_DEP_1) | instskip(NEXT) | instid1(VALU_DEP_1)
	v_dual_add_nc_u32 v13, s50, v11 :: v_dual_bitop2_b32 v8, v8, v12 bitop3:0x14
	v_dual_sub_nc_u32 v9, v8, v12 :: v_dual_sub_nc_u32 v14, s11, v11
	v_mul_lo_u32 v8, s5, v7
	v_dual_mov_b32 v11, 0 :: v_dual_add_nc_u32 v12, s49, v11
	s_delay_alu instid0(VALU_DEP_3) | instskip(NEXT) | instid1(VALU_DEP_1)
	v_add_min_i32_e64 v9, v9, 1, s5
	v_cmp_lt_i32_e64 s1, v3, v9
	s_branch .LBB20_24
.LBB20_22:                              ;   in Loop: Header=BB20_24 Depth=2
	s_or_b32 exec_lo, exec_lo, s42
.LBB20_23:                              ;   in Loop: Header=BB20_24 Depth=2
	s_delay_alu instid0(SALU_CYCLE_1) | instskip(NEXT) | instid1(VALU_DEP_4)
	s_or_b32 exec_lo, exec_lo, s41
	v_dual_add_nc_u32 v7, 1, v7 :: v_dual_add_nc_u32 v8, s5, v8
	s_delay_alu instid0(VALU_DEP_1) | instskip(SKIP_1) | instid1(SALU_CYCLE_1)
	v_cmp_ge_i32_e32 vcc_lo, v7, v6
	s_or_b32 s40, vcc_lo, s40
	s_and_not1_b32 exec_lo, exec_lo, s40
	s_cbranch_execz .LBB20_2
.LBB20_24:                              ;   Parent Loop BB20_4 Depth=1
                                        ; =>  This Loop Header: Depth=2
                                        ;       Child Loop BB20_27 Depth 3
	s_delay_alu instid0(VALU_DEP_1)
	s_and_saveexec_b32 s41, s1
	s_cbranch_execz .LBB20_23
; %bb.25:                               ;   in Loop: Header=BB20_24 Depth=2
	v_mul_lo_u32 v15, v7, s8
	s_mov_b32 s42, 0
	v_mov_b32_e32 v16, v13
	s_delay_alu instid0(VALU_DEP_2) | instskip(NEXT) | instid1(VALU_DEP_1)
	v_subrev_nc_u32_e32 v18, s10, v15
	v_dual_mov_b32 v15, v14 :: v_dual_max_i32 v20, 0, v18
	v_add_min_i32_e64 v19, v18, s6, s45
	s_delay_alu instid0(VALU_DEP_1) | instskip(SKIP_1) | instid1(VALU_DEP_1)
	v_dual_mov_b32 v17, v12 :: v_dual_sub_nc_u32 v18, v19, v18
	v_min_i32_e32 v21, s16, v19
	v_cmp_gt_i32_e64 s2, v21, v20
	v_dual_mov_b32 v20, v3 :: v_dual_sub_nc_u32 v19, v21, v20
	s_branch .LBB20_27
.LBB20_26:                              ;   in Loop: Header=BB20_27 Depth=3
	s_or_b32 exec_lo, exec_lo, s43
	v_dual_add_nc_u32 v20, 1, v20 :: v_dual_add_nc_u32 v17, s9, v17
	v_add_nc_u32_e32 v16, s9, v16
	v_subrev_nc_u32_e32 v15, s9, v15
	s_delay_alu instid0(VALU_DEP_3) | instskip(SKIP_1) | instid1(SALU_CYCLE_1)
	v_cmp_ge_i32_e32 vcc_lo, v20, v9
	s_or_b32 s42, vcc_lo, s42
	s_and_not1_b32 exec_lo, exec_lo, s42
	s_cbranch_execz .LBB20_22
.LBB20_27:                              ;   Parent Loop BB20_4 Depth=1
                                        ;     Parent Loop BB20_24 Depth=2
                                        ; =>    This Inner Loop Header: Depth=3
	v_dual_add_nc_u32 v22, s7, v17 :: v_dual_max_i32 v21, 0, v17
	s_delay_alu instid0(VALU_DEP_1) | instskip(NEXT) | instid1(VALU_DEP_1)
	v_min3_i32 v22, v22, s46, s18
	v_cmp_gt_i32_e32 vcc_lo, v22, v21
	s_and_b32 s52, s2, vcc_lo
	s_delay_alu instid0(SALU_CYCLE_1)
	s_and_saveexec_b32 s43, s52
	s_cbranch_execz .LBB20_26
; %bb.28:                               ;   in Loop: Header=BB20_27 Depth=3
	v_dual_add_nc_u32 v24, v8, v20 :: v_dual_sub_nc_u32 v21, v22, v21
	s_delay_alu instid0(VALU_DEP_1) | instskip(NEXT) | instid1(VALU_DEP_2)
	v_ashrrev_i32_e32 v25, 31, v24
	v_mul_lo_u32 v21, v21, v19
	s_delay_alu instid0(VALU_DEP_2) | instskip(NEXT) | instid1(VALU_DEP_1)
	v_mul_u64_e32 v[24:25], s[14:15], v[24:25]
	v_lshl_add_u64 v[24:25], v[24:25], 1, v[4:5]
	global_load_u16 v23, v[24:25], off
	s_wait_xcnt 0x0
	v_min_i32_e32 v24, s46, v16
	s_delay_alu instid0(VALU_DEP_1) | instskip(NEXT) | instid1(VALU_DEP_1)
	v_add_nc_u32_e32 v22, v24, v15
	v_mul_lo_u32 v22, v22, v18
	s_delay_alu instid0(VALU_DEP_1) | instskip(NEXT) | instid1(VALU_DEP_1)
	v_cndmask_b32_e64 v21, v21, v22, s0
	v_cndmask_b32_e64 v21, v21, s22, s23
	s_delay_alu instid0(VALU_DEP_1) | instskip(NEXT) | instid1(VALU_DEP_1)
	v_cvt_f32_i32_e32 v21, v21
	v_bfe_u32 v22, v21, 16, 1
	s_delay_alu instid0(VALU_DEP_1) | instskip(NEXT) | instid1(VALU_DEP_1)
	v_add3_u32 v21, v21, v22, 0x7fff
	v_and_b32_e32 v21, 0xffff0000, v21
	s_wait_loadcnt 0x0
	v_lshlrev_b32_e32 v22, 16, v23
	s_delay_alu instid0(VALU_DEP_1) | instskip(NEXT) | instid1(VALU_DEP_1)
	v_div_scale_f32 v23, null, v21, v21, v22
	v_rcp_f32_e32 v24, v23
	v_nop
	s_delay_alu instid0(TRANS32_DEP_1) | instskip(NEXT) | instid1(VALU_DEP_1)
	v_fma_f32 v25, -v23, v24, 1.0
	v_fmac_f32_e32 v24, v25, v24
	v_div_scale_f32 v25, vcc_lo, v22, v21, v22
	s_delay_alu instid0(VALU_DEP_1) | instskip(NEXT) | instid1(VALU_DEP_1)
	v_mul_f32_e32 v26, v25, v24
	v_fma_f32 v27, -v23, v26, v25
	s_delay_alu instid0(VALU_DEP_1) | instskip(NEXT) | instid1(VALU_DEP_1)
	v_fmac_f32_e32 v26, v27, v24
	v_fma_f32 v23, -v23, v26, v25
	s_delay_alu instid0(VALU_DEP_1) | instskip(NEXT) | instid1(VALU_DEP_1)
	v_div_fmas_f32 v23, v23, v24, v26
	v_div_fixup_f32 v21, v23, v21, v22
	s_delay_alu instid0(VALU_DEP_1) | instskip(SKIP_1) | instid1(VALU_DEP_2)
	v_bfe_u32 v22, v21, 16, 1
	v_cmp_o_f32_e32 vcc_lo, v21, v21
	v_add3_u32 v22, v21, v22, 0x7fff
	s_delay_alu instid0(VALU_DEP_1) | instskip(NEXT) | instid1(VALU_DEP_1)
	v_and_b32_e32 v22, 0xffff0000, v22
	v_cndmask_b32_e32 v21, 0x7fc00000, v22, vcc_lo
	s_delay_alu instid0(VALU_DEP_1)
	v_add_f32_e32 v11, v11, v21
	s_branch .LBB20_26
.LBB20_29:
	s_endpgm
	.section	.rodata,"a",@progbits
	.p2align	6, 0x0
	.amdhsa_kernel _ZN2at6native12_GLOBAL__N_139avg_pool2d_backward_out_cuda_frame_nhwcIN3c108BFloat16EfiEEvT1_PKT_llliiiiiiiiPS6_ibb
		.amdhsa_group_segment_fixed_size 0
		.amdhsa_private_segment_fixed_size 0
		.amdhsa_kernarg_size 344
		.amdhsa_user_sgpr_count 2
		.amdhsa_user_sgpr_dispatch_ptr 0
		.amdhsa_user_sgpr_queue_ptr 0
		.amdhsa_user_sgpr_kernarg_segment_ptr 1
		.amdhsa_user_sgpr_dispatch_id 0
		.amdhsa_user_sgpr_kernarg_preload_length 0
		.amdhsa_user_sgpr_kernarg_preload_offset 0
		.amdhsa_user_sgpr_private_segment_size 0
		.amdhsa_wavefront_size32 1
		.amdhsa_uses_dynamic_stack 0
		.amdhsa_enable_private_segment 0
		.amdhsa_system_sgpr_workgroup_id_x 1
		.amdhsa_system_sgpr_workgroup_id_y 0
		.amdhsa_system_sgpr_workgroup_id_z 0
		.amdhsa_system_sgpr_workgroup_info 0
		.amdhsa_system_vgpr_workitem_id 0
		.amdhsa_next_free_vgpr 28
		.amdhsa_next_free_sgpr 61
		.amdhsa_named_barrier_count 0
		.amdhsa_reserve_vcc 1
		.amdhsa_float_round_mode_32 0
		.amdhsa_float_round_mode_16_64 0
		.amdhsa_float_denorm_mode_32 3
		.amdhsa_float_denorm_mode_16_64 3
		.amdhsa_fp16_overflow 0
		.amdhsa_memory_ordered 1
		.amdhsa_forward_progress 1
		.amdhsa_inst_pref_size 30
		.amdhsa_round_robin_scheduling 0
		.amdhsa_exception_fp_ieee_invalid_op 0
		.amdhsa_exception_fp_denorm_src 0
		.amdhsa_exception_fp_ieee_div_zero 0
		.amdhsa_exception_fp_ieee_overflow 0
		.amdhsa_exception_fp_ieee_underflow 0
		.amdhsa_exception_fp_ieee_inexact 0
		.amdhsa_exception_int_div_zero 0
	.end_amdhsa_kernel
	.section	.text._ZN2at6native12_GLOBAL__N_139avg_pool2d_backward_out_cuda_frame_nhwcIN3c108BFloat16EfiEEvT1_PKT_llliiiiiiiiPS6_ibb,"axG",@progbits,_ZN2at6native12_GLOBAL__N_139avg_pool2d_backward_out_cuda_frame_nhwcIN3c108BFloat16EfiEEvT1_PKT_llliiiiiiiiPS6_ibb,comdat
.Lfunc_end20:
	.size	_ZN2at6native12_GLOBAL__N_139avg_pool2d_backward_out_cuda_frame_nhwcIN3c108BFloat16EfiEEvT1_PKT_llliiiiiiiiPS6_ibb, .Lfunc_end20-_ZN2at6native12_GLOBAL__N_139avg_pool2d_backward_out_cuda_frame_nhwcIN3c108BFloat16EfiEEvT1_PKT_llliiiiiiiiPS6_ibb
                                        ; -- End function
	.set _ZN2at6native12_GLOBAL__N_139avg_pool2d_backward_out_cuda_frame_nhwcIN3c108BFloat16EfiEEvT1_PKT_llliiiiiiiiPS6_ibb.num_vgpr, 28
	.set _ZN2at6native12_GLOBAL__N_139avg_pool2d_backward_out_cuda_frame_nhwcIN3c108BFloat16EfiEEvT1_PKT_llliiiiiiiiPS6_ibb.num_agpr, 0
	.set _ZN2at6native12_GLOBAL__N_139avg_pool2d_backward_out_cuda_frame_nhwcIN3c108BFloat16EfiEEvT1_PKT_llliiiiiiiiPS6_ibb.numbered_sgpr, 61
	.set _ZN2at6native12_GLOBAL__N_139avg_pool2d_backward_out_cuda_frame_nhwcIN3c108BFloat16EfiEEvT1_PKT_llliiiiiiiiPS6_ibb.num_named_barrier, 0
	.set _ZN2at6native12_GLOBAL__N_139avg_pool2d_backward_out_cuda_frame_nhwcIN3c108BFloat16EfiEEvT1_PKT_llliiiiiiiiPS6_ibb.private_seg_size, 0
	.set _ZN2at6native12_GLOBAL__N_139avg_pool2d_backward_out_cuda_frame_nhwcIN3c108BFloat16EfiEEvT1_PKT_llliiiiiiiiPS6_ibb.uses_vcc, 1
	.set _ZN2at6native12_GLOBAL__N_139avg_pool2d_backward_out_cuda_frame_nhwcIN3c108BFloat16EfiEEvT1_PKT_llliiiiiiiiPS6_ibb.uses_flat_scratch, 0
	.set _ZN2at6native12_GLOBAL__N_139avg_pool2d_backward_out_cuda_frame_nhwcIN3c108BFloat16EfiEEvT1_PKT_llliiiiiiiiPS6_ibb.has_dyn_sized_stack, 0
	.set _ZN2at6native12_GLOBAL__N_139avg_pool2d_backward_out_cuda_frame_nhwcIN3c108BFloat16EfiEEvT1_PKT_llliiiiiiiiPS6_ibb.has_recursion, 0
	.set _ZN2at6native12_GLOBAL__N_139avg_pool2d_backward_out_cuda_frame_nhwcIN3c108BFloat16EfiEEvT1_PKT_llliiiiiiiiPS6_ibb.has_indirect_call, 0
	.section	.AMDGPU.csdata,"",@progbits
; Kernel info:
; codeLenInByte = 3828
; TotalNumSgprs: 63
; NumVgprs: 28
; ScratchSize: 0
; MemoryBound: 0
; FloatMode: 240
; IeeeMode: 1
; LDSByteSize: 0 bytes/workgroup (compile time only)
; SGPRBlocks: 0
; VGPRBlocks: 1
; NumSGPRsForWavesPerEU: 63
; NumVGPRsForWavesPerEU: 28
; NamedBarCnt: 0
; Occupancy: 16
; WaveLimiterHint : 0
; COMPUTE_PGM_RSRC2:SCRATCH_EN: 0
; COMPUTE_PGM_RSRC2:USER_SGPR: 2
; COMPUTE_PGM_RSRC2:TRAP_HANDLER: 0
; COMPUTE_PGM_RSRC2:TGID_X_EN: 1
; COMPUTE_PGM_RSRC2:TGID_Y_EN: 0
; COMPUTE_PGM_RSRC2:TGID_Z_EN: 0
; COMPUTE_PGM_RSRC2:TIDIG_COMP_CNT: 0
	.section	.text._ZN2at6native12_GLOBAL__N_134avg_pool2d_backward_out_cuda_frameIN3c108BFloat16EfiEEvT1_PKT_llllliiiiiiPS6_ibb,"axG",@progbits,_ZN2at6native12_GLOBAL__N_134avg_pool2d_backward_out_cuda_frameIN3c108BFloat16EfiEEvT1_PKT_llllliiiiiiPS6_ibb,comdat
	.globl	_ZN2at6native12_GLOBAL__N_134avg_pool2d_backward_out_cuda_frameIN3c108BFloat16EfiEEvT1_PKT_llllliiiiiiPS6_ibb ; -- Begin function _ZN2at6native12_GLOBAL__N_134avg_pool2d_backward_out_cuda_frameIN3c108BFloat16EfiEEvT1_PKT_llllliiiiiiPS6_ibb
	.p2align	8
	.type	_ZN2at6native12_GLOBAL__N_134avg_pool2d_backward_out_cuda_frameIN3c108BFloat16EfiEEvT1_PKT_llllliiiiiiPS6_ibb,@function
_ZN2at6native12_GLOBAL__N_134avg_pool2d_backward_out_cuda_frameIN3c108BFloat16EfiEEvT1_PKT_llllliiiiiiPS6_ibb: ; @_ZN2at6native12_GLOBAL__N_134avg_pool2d_backward_out_cuda_frameIN3c108BFloat16EfiEEvT1_PKT_llllliiiiiiPS6_ibb
; %bb.0:
	s_clause 0x1
	s_load_b32 s20, s[0:1], 0x0
	s_load_b32 s2, s[0:1], 0x6c
	s_bfe_u32 s3, ttmp6, 0x4000c
	v_mov_b32_e32 v2, 0
	s_add_co_i32 s3, s3, 1
	s_and_b32 s4, ttmp6, 15
	s_mul_i32 s3, ttmp9, s3
	s_getreg_b32 s5, hwreg(HW_REG_IB_STS2, 6, 4)
	v_mov_b32_e32 v1, v2
	s_add_co_i32 s4, s4, s3
	s_mov_b32 s23, 0
	s_wait_kmcnt 0x0
	s_ashr_i32 s21, s20, 31
	s_and_b32 s22, s2, 0xffff
	s_cmp_eq_u32 s5, 0
	s_cselect_b32 s2, ttmp9, s4
	s_delay_alu instid0(SALU_CYCLE_1) | instskip(SKIP_1) | instid1(VALU_DEP_1)
	v_mad_nc_u64_u32 v[0:1], s22, s2, v[0:1]
	s_mov_b32 s2, exec_lo
	v_cmpx_gt_i64_e64 s[20:21], v[0:1]
	s_cbranch_execz .LBB21_25
; %bb.1:
	s_clause 0x3
	s_load_b64 s[24:25], s[0:1], 0x58
	s_load_b256 s[4:11], s[0:1], 0x18
	s_load_b32 s26, s[0:1], 0x5c
	s_load_b256 s[12:19], s[0:1], 0x38
	s_add_nc_u64 s[2:3], s[0:1], 0x60
	s_mov_b32 s31, s23
	s_load_b32 s28, s[2:3], 0x0
	s_mov_b32 s35, s23
	s_mov_b64 s[40:41], 0xffffffff
	s_mov_b32 s53, 0
	s_wait_kmcnt 0x0
	s_bitcmp1_b32 s25, 0
	v_cvt_f32_u32_e32 v3, s6
	s_cselect_b32 s2, -1, 0
	s_bitcmp1_b32 s26, 8
	s_cselect_b32 s3, -1, 0
	s_delay_alu instid0(VALU_DEP_1)
	v_rcp_iflag_f32_e32 v3, v3
	s_abs_i32 s25, s14
	s_abs_i32 s33, s15
	s_cvt_f32_u32 s26, s25
	s_cvt_f32_u32 s29, s33
	s_mul_i32 s28, s28, s22
	s_sub_co_i32 s22, 0, s6
	v_nop
	v_mul_f32_e32 v3, 0x4f7ffffe, v3
	v_rcp_iflag_f32_e32 v4, s26
	s_load_b64 s[26:27], s[0:1], 0x8
	v_rcp_iflag_f32_e32 v5, s29
	s_sub_co_i32 s30, 0, s33
	v_cvt_u32_f32_e32 v3, v3
	s_mov_b32 s29, s23
	s_add_co_i32 s48, s16, s4
	s_wait_xcnt 0x0
	v_readfirstlane_b32 s0, v4
	s_add_co_i32 s49, s17, s6
	v_mul_lo_u32 v4, s22, v3
	v_readfirstlane_b32 s1, v5
	s_sub_co_i32 s22, 0, s25
	s_mul_f32 s0, s0, 0x4f7ffffe
	s_ashr_i32 s50, s14, 31
	s_ashr_i32 s51, s15, 31
	s_mul_f32 s1, s1, 0x4f7ffffe
	s_cvt_u32_f32 s0, s0
	s_lshl_b64 s[36:37], s[8:9], 1
	s_lshl_b64 s[38:39], s[10:11], 1
	s_cvt_u32_f32 s1, s1
	v_mul_hi_u32 v4, v3, v4
	s_mul_i32 s22, s22, s0
	s_sub_co_i32 s9, 0, s17
	s_mul_i32 s34, s30, s1
	s_mul_hi_u32 s22, s0, s22
	s_sub_co_i32 s52, s13, s17
	s_add_co_i32 s30, s0, s22
	s_mul_hi_u32 s0, s1, s34
	s_ashr_i32 s42, s7, 31
	s_add_co_i32 s34, s1, s0
	s_ashr_i32 s44, s5, 31
	v_add_nc_u32_e32 v12, v3, v4
	s_branch .LBB21_4
.LBB21_2:                               ;   in Loop: Header=BB21_4 Depth=1
	s_or_b32 exec_lo, exec_lo, s43
.LBB21_3:                               ;   in Loop: Header=BB21_4 Depth=1
	s_delay_alu instid0(SALU_CYCLE_1) | instskip(SKIP_4) | instid1(VALU_DEP_4)
	s_or_b32 exec_lo, exec_lo, s22
	v_bfe_u32 v3, v7, 16, 1
	v_lshl_add_u64 v[4:5], v[0:1], 1, s[18:19]
	v_add_nc_u64_e32 v[0:1], s[28:29], v[0:1]
	v_cmp_o_f32_e64 s0, v7, v7
	v_add3_u32 v3, v7, v3, 0x7fff
	s_delay_alu instid0(VALU_DEP_3) | instskip(NEXT) | instid1(VALU_DEP_2)
	v_cmp_le_i64_e32 vcc_lo, s[20:21], v[0:1]
	v_lshrrev_b32_e32 v3, 16, v3
	s_delay_alu instid0(VALU_DEP_1)
	v_cndmask_b32_e64 v3, 0x7fc0, v3, s0
	s_or_b32 s53, vcc_lo, s53
	global_store_b16 v[4:5], v3, off
	s_wait_xcnt 0x0
	s_and_not1_b32 exec_lo, exec_lo, s53
	s_cbranch_execz .LBB21_25
.LBB21_4:                               ; =>This Loop Header: Depth=1
                                        ;     Child Loop BB21_20 Depth 2
                                        ;       Child Loop BB21_23 Depth 3
	v_or_b32_e32 v3, s7, v1
                                        ; implicit-def: $vgpr4_vgpr5
	s_mov_b32 s0, exec_lo
	s_delay_alu instid0(VALU_DEP_1)
	v_cmpx_ne_u64_e32 0, v[2:3]
	s_xor_b32 s1, exec_lo, s0
	s_cbranch_execz .LBB21_6
; %bb.5:                                ;   in Loop: Header=BB21_4 Depth=1
	s_mov_b32 s43, s42
	v_dual_mov_b32 v9, v2 :: v_dual_ashrrev_i32 v4, 31, v1
	s_add_nc_u64 s[46:47], s[6:7], s[42:43]
	v_mov_b32_e32 v19, v2
	s_xor_b64 s[46:47], s[46:47], s[42:43]
	s_delay_alu instid0(VALU_DEP_2) | instskip(SKIP_3) | instid1(VALU_DEP_1)
	v_mov_b32_e32 v5, v4
	s_cvt_f32_u32 s0, s46
	s_cvt_f32_u32 s22, s47
	s_sub_nc_u64 s[56:57], 0, s[46:47]
	v_add_nc_u64_e32 v[6:7], v[0:1], v[4:5]
	s_delay_alu instid0(SALU_CYCLE_1) | instskip(SKIP_1) | instid1(SALU_CYCLE_2)
	s_fmamk_f32 s0, s22, 0x4f800000, s0
	v_mov_b32_e32 v15, v2
	v_s_rcp_f32 s0, s0
	s_delay_alu instid0(VALU_DEP_2) | instskip(NEXT) | instid1(VALU_DEP_3)
	v_xor_b32_e32 v8, v6, v4
	v_xor_b32_e32 v14, v7, v4
	s_delay_alu instid0(TRANS32_DEP_1) | instskip(NEXT) | instid1(SALU_CYCLE_3)
	s_mul_f32 s0, s0, 0x5f7ffffc
	s_mul_f32 s22, s0, 0x2f800000
	s_delay_alu instid0(SALU_CYCLE_3) | instskip(NEXT) | instid1(SALU_CYCLE_3)
	s_trunc_f32 s22, s22
	s_fmamk_f32 s0, s22, 0xcf800000, s0
	s_cvt_u32_f32 s55, s22
	s_delay_alu instid0(SALU_CYCLE_2) | instskip(NEXT) | instid1(SALU_CYCLE_3)
	s_cvt_u32_f32 s54, s0
	s_mul_u64 s[58:59], s[56:57], s[54:55]
	s_delay_alu instid0(SALU_CYCLE_1)
	s_mul_hi_u32 s61, s54, s59
	s_mul_i32 s60, s54, s59
	s_mul_hi_u32 s22, s54, s58
	s_mul_i32 s43, s55, s58
	s_add_nc_u64 s[60:61], s[22:23], s[60:61]
	s_mul_hi_u32 s0, s55, s58
	s_mul_hi_u32 s45, s55, s59
	s_add_co_u32 s22, s60, s43
	s_add_co_ci_u32 s22, s61, s0
	s_mul_i32 s58, s55, s59
	s_add_co_ci_u32 s59, s45, 0
	s_delay_alu instid0(SALU_CYCLE_1) | instskip(NEXT) | instid1(SALU_CYCLE_1)
	s_add_nc_u64 s[58:59], s[22:23], s[58:59]
	s_add_co_u32 s54, s54, s58
	s_cselect_b32 s0, -1, 0
	s_delay_alu instid0(SALU_CYCLE_1) | instskip(SKIP_1) | instid1(SALU_CYCLE_1)
	s_cmp_lg_u32 s0, 0
	s_add_co_ci_u32 s55, s55, s59
	s_mul_u64 s[56:57], s[56:57], s[54:55]
	s_delay_alu instid0(SALU_CYCLE_1)
	s_mul_hi_u32 s59, s54, s57
	s_mul_i32 s58, s54, s57
	s_mul_hi_u32 s22, s54, s56
	s_mul_i32 s43, s55, s56
	s_add_nc_u64 s[58:59], s[22:23], s[58:59]
	s_mul_hi_u32 s0, s55, s56
	s_mul_hi_u32 s45, s55, s57
	s_add_co_u32 s22, s58, s43
	s_add_co_ci_u32 s22, s59, s0
	s_mul_i32 s56, s55, s57
	s_add_co_ci_u32 s57, s45, 0
	s_delay_alu instid0(SALU_CYCLE_1) | instskip(NEXT) | instid1(SALU_CYCLE_1)
	s_add_nc_u64 s[56:57], s[22:23], s[56:57]
	s_add_co_u32 s0, s54, s56
	s_cselect_b32 s22, -1, 0
	v_mul_hi_u32 v18, v8, s0
	s_cmp_lg_u32 s22, 0
	s_add_co_ci_u32 s22, s55, s57
	s_and_b64 s[54:55], s[0:1], s[40:41]
	v_mul_u64_e32 v[10:11], s[22:23], v[8:9]
	v_mul_u64_e32 v[6:7], s[54:55], v[14:15]
	;; [unrolled: 1-line block ×3, first 2 shown]
	s_delay_alu instid0(VALU_DEP_3) | instskip(NEXT) | instid1(VALU_DEP_1)
	v_add_nc_u64_e32 v[10:11], v[18:19], v[10:11]
	v_add_co_u32 v3, vcc_lo, v10, v6
	s_delay_alu instid0(VALU_DEP_2) | instskip(NEXT) | instid1(VALU_DEP_4)
	v_add_co_ci_u32_e32 v18, vcc_lo, v11, v7, vcc_lo
	v_add_co_ci_u32_e32 v17, vcc_lo, 0, v17, vcc_lo
	s_delay_alu instid0(VALU_DEP_1) | instskip(NEXT) | instid1(VALU_DEP_1)
	v_add_nc_u64_e32 v[6:7], v[18:19], v[16:17]
	v_mul_u64_e32 v[10:11], s[46:47], v[6:7]
	s_delay_alu instid0(VALU_DEP_1) | instskip(NEXT) | instid1(VALU_DEP_2)
	v_sub_nc_u32_e32 v3, v14, v11
	v_sub_co_u32 v5, vcc_lo, v8, v10
	s_delay_alu instid0(VALU_DEP_1) | instskip(NEXT) | instid1(VALU_DEP_3)
	v_sub_co_ci_u32_e64 v13, null, v14, v11, vcc_lo
	v_subrev_co_ci_u32_e64 v3, null, s47, v3, vcc_lo
	s_delay_alu instid0(VALU_DEP_3) | instskip(SKIP_1) | instid1(VALU_DEP_3)
	v_sub_co_u32 v8, s0, v5, s46
	v_add_nc_u64_e32 v[10:11], 1, v[6:7]
	v_subrev_co_ci_u32_e64 v3, null, 0, v3, s0
	s_delay_alu instid0(VALU_DEP_3) | instskip(SKIP_1) | instid1(VALU_DEP_3)
	v_cmp_le_u32_e32 vcc_lo, s46, v8
	v_cndmask_b32_e64 v8, 0, -1, vcc_lo
	v_cmp_le_u32_e32 vcc_lo, s47, v3
	v_cndmask_b32_e64 v9, 0, -1, vcc_lo
	;; [unrolled: 2-line block ×4, first 2 shown]
	v_cmp_eq_u32_e32 vcc_lo, s47, v3
	v_cndmask_b32_e32 v3, v9, v8, vcc_lo
	v_cmp_eq_u32_e32 vcc_lo, s47, v13
	v_add_nc_u64_e32 v[8:9], 2, v[6:7]
	v_cndmask_b32_e32 v5, v14, v5, vcc_lo
	s_delay_alu instid0(VALU_DEP_4) | instskip(NEXT) | instid1(VALU_DEP_2)
	v_cmp_ne_u32_e32 vcc_lo, 0, v3
	v_cmp_ne_u32_e64 s0, 0, v5
	s_delay_alu instid0(VALU_DEP_4) | instskip(NEXT) | instid1(VALU_DEP_1)
	v_dual_cndmask_b32 v3, v11, v9, vcc_lo :: v_dual_cndmask_b32 v5, v10, v8, vcc_lo
	v_dual_cndmask_b32 v3, v7, v3, s0 :: v_dual_bitop2_b32 v4, s42, v4 bitop3:0x14
	s_delay_alu instid0(VALU_DEP_1) | instskip(NEXT) | instid1(VALU_DEP_2)
	v_dual_cndmask_b32 v6, v6, v5, s0 :: v_dual_mov_b32 v5, v4
	v_xor_b32_e32 v7, v3, v4
	s_delay_alu instid0(VALU_DEP_2) | instskip(NEXT) | instid1(VALU_DEP_1)
	v_xor_b32_e32 v6, v6, v4
	v_sub_nc_u64_e32 v[4:5], v[6:7], v[4:5]
.LBB21_6:                               ;   in Loop: Header=BB21_4 Depth=1
	s_and_not1_saveexec_b32 s0, s1
	s_cbranch_execz .LBB21_8
; %bb.7:                                ;   in Loop: Header=BB21_4 Depth=1
	v_mul_hi_u32 v3, v0, v12
	s_delay_alu instid0(VALU_DEP_1) | instskip(NEXT) | instid1(VALU_DEP_1)
	v_mul_lo_u32 v4, v3, s6
	v_dual_add_nc_u32 v5, 1, v3 :: v_dual_sub_nc_u32 v4, v0, v4
	s_delay_alu instid0(VALU_DEP_1) | instskip(SKIP_1) | instid1(VALU_DEP_2)
	v_subrev_nc_u32_e32 v6, s6, v4
	v_cmp_le_u32_e32 vcc_lo, s6, v4
	v_dual_cndmask_b32 v4, v4, v6 :: v_dual_cndmask_b32 v3, v3, v5
	s_delay_alu instid0(VALU_DEP_1) | instskip(NEXT) | instid1(VALU_DEP_2)
	v_cmp_le_u32_e32 vcc_lo, s6, v4
	v_add_nc_u32_e32 v5, 1, v3
	s_delay_alu instid0(VALU_DEP_1)
	v_dual_cndmask_b32 v4, v3, v5 :: v_dual_mov_b32 v5, v2
.LBB21_8:                               ;   in Loop: Header=BB21_4 Depth=1
	s_or_b32 exec_lo, exec_lo, s0
	s_delay_alu instid0(VALU_DEP_1) | instskip(SKIP_1) | instid1(VALU_DEP_1)
	v_or_b32_e32 v3, s5, v5
                                        ; implicit-def: $vgpr10_vgpr11
	s_mov_b32 s0, exec_lo
	v_cmpx_ne_u64_e32 0, v[2:3]
	s_xor_b32 s1, exec_lo, s0
	s_cbranch_execz .LBB21_10
; %bb.9:                                ;   in Loop: Header=BB21_4 Depth=1
	s_mov_b32 s45, s44
	v_dual_mov_b32 v11, v2 :: v_dual_ashrrev_i32 v6, 31, v5
	s_add_nc_u64 s[46:47], s[4:5], s[44:45]
	s_delay_alu instid0(SALU_CYCLE_1) | instskip(NEXT) | instid1(VALU_DEP_1)
	s_xor_b64 s[46:47], s[46:47], s[44:45]
	v_mov_b32_e32 v7, v6
	s_cvt_f32_u32 s0, s46
	s_cvt_f32_u32 s22, s47
	s_sub_nc_u64 s[56:57], 0, s[46:47]
	s_delay_alu instid0(VALU_DEP_1) | instskip(NEXT) | instid1(SALU_CYCLE_1)
	v_add_nc_u64_e32 v[8:9], v[4:5], v[6:7]
	s_fmamk_f32 s0, s22, 0x4f800000, s0
	v_mov_b32_e32 v17, v2
	s_delay_alu instid0(SALU_CYCLE_2) | instskip(NEXT) | instid1(VALU_DEP_2)
	v_s_rcp_f32 s0, s0
	v_xor_b32_e32 v10, v8, v6
	s_delay_alu instid0(VALU_DEP_3) | instskip(NEXT) | instid1(TRANS32_DEP_1)
	v_dual_mov_b32 v21, v2 :: v_dual_bitop2_b32 v16, v9, v6 bitop3:0x14
	s_mul_f32 s0, s0, 0x5f7ffffc
	s_delay_alu instid0(SALU_CYCLE_3) | instskip(NEXT) | instid1(SALU_CYCLE_3)
	s_mul_f32 s22, s0, 0x2f800000
	s_trunc_f32 s22, s22
	s_delay_alu instid0(SALU_CYCLE_3) | instskip(SKIP_1) | instid1(SALU_CYCLE_2)
	s_fmamk_f32 s0, s22, 0xcf800000, s0
	s_cvt_u32_f32 s55, s22
	s_cvt_u32_f32 s54, s0
	s_delay_alu instid0(SALU_CYCLE_3) | instskip(NEXT) | instid1(SALU_CYCLE_1)
	s_mul_u64 s[58:59], s[56:57], s[54:55]
	s_mul_hi_u32 s61, s54, s59
	s_mul_i32 s60, s54, s59
	s_mul_hi_u32 s22, s54, s58
	s_mul_i32 s43, s55, s58
	s_add_nc_u64 s[60:61], s[22:23], s[60:61]
	s_mul_hi_u32 s0, s55, s58
	s_mul_hi_u32 s45, s55, s59
	s_add_co_u32 s22, s60, s43
	s_add_co_ci_u32 s22, s61, s0
	s_mul_i32 s58, s55, s59
	s_add_co_ci_u32 s59, s45, 0
	s_delay_alu instid0(SALU_CYCLE_1) | instskip(NEXT) | instid1(SALU_CYCLE_1)
	s_add_nc_u64 s[58:59], s[22:23], s[58:59]
	s_add_co_u32 s54, s54, s58
	s_cselect_b32 s0, -1, 0
	s_delay_alu instid0(SALU_CYCLE_1) | instskip(SKIP_1) | instid1(SALU_CYCLE_1)
	s_cmp_lg_u32 s0, 0
	s_add_co_ci_u32 s55, s55, s59
	s_mul_u64 s[56:57], s[56:57], s[54:55]
	s_delay_alu instid0(SALU_CYCLE_1)
	s_mul_hi_u32 s59, s54, s57
	s_mul_i32 s58, s54, s57
	s_mul_hi_u32 s22, s54, s56
	s_mul_i32 s43, s55, s56
	s_add_nc_u64 s[58:59], s[22:23], s[58:59]
	s_mul_hi_u32 s0, s55, s56
	s_mul_hi_u32 s45, s55, s57
	s_add_co_u32 s22, s58, s43
	s_add_co_ci_u32 s22, s59, s0
	s_mul_i32 s56, s55, s57
	s_add_co_ci_u32 s57, s45, 0
	s_delay_alu instid0(SALU_CYCLE_1) | instskip(NEXT) | instid1(SALU_CYCLE_1)
	s_add_nc_u64 s[56:57], s[22:23], s[56:57]
	s_add_co_u32 s0, s54, s56
	s_cselect_b32 s22, -1, 0
	v_mul_hi_u32 v20, v10, s0
	s_cmp_lg_u32 s22, 0
	s_add_co_ci_u32 s22, s55, s57
	s_and_b64 s[54:55], s[0:1], s[40:41]
	v_mul_u64_e32 v[14:15], s[22:23], v[10:11]
	v_mul_u64_e32 v[8:9], s[54:55], v[16:17]
	;; [unrolled: 1-line block ×3, first 2 shown]
	s_delay_alu instid0(VALU_DEP_3) | instskip(NEXT) | instid1(VALU_DEP_1)
	v_add_nc_u64_e32 v[14:15], v[20:21], v[14:15]
	v_add_co_u32 v3, vcc_lo, v14, v8
	s_delay_alu instid0(VALU_DEP_2) | instskip(NEXT) | instid1(VALU_DEP_4)
	v_add_co_ci_u32_e32 v20, vcc_lo, v15, v9, vcc_lo
	v_add_co_ci_u32_e32 v19, vcc_lo, 0, v19, vcc_lo
	s_delay_alu instid0(VALU_DEP_1) | instskip(NEXT) | instid1(VALU_DEP_1)
	v_add_nc_u64_e32 v[8:9], v[20:21], v[18:19]
	v_mul_u64_e32 v[14:15], s[46:47], v[8:9]
	s_delay_alu instid0(VALU_DEP_1) | instskip(NEXT) | instid1(VALU_DEP_2)
	v_sub_nc_u32_e32 v3, v16, v15
	v_sub_co_u32 v5, vcc_lo, v10, v14
	s_delay_alu instid0(VALU_DEP_1) | instskip(NEXT) | instid1(VALU_DEP_3)
	v_sub_co_ci_u32_e64 v13, null, v16, v15, vcc_lo
	v_subrev_co_ci_u32_e64 v3, null, s47, v3, vcc_lo
	s_delay_alu instid0(VALU_DEP_3) | instskip(SKIP_1) | instid1(VALU_DEP_3)
	v_sub_co_u32 v7, s0, v5, s46
	v_add_nc_u64_e32 v[14:15], 1, v[8:9]
	v_subrev_co_ci_u32_e64 v3, null, 0, v3, s0
	s_delay_alu instid0(VALU_DEP_3) | instskip(SKIP_1) | instid1(VALU_DEP_3)
	v_cmp_le_u32_e32 vcc_lo, s46, v7
	v_cndmask_b32_e64 v7, 0, -1, vcc_lo
	v_cmp_le_u32_e32 vcc_lo, s47, v3
	v_cndmask_b32_e64 v10, 0, -1, vcc_lo
	;; [unrolled: 2-line block ×4, first 2 shown]
	v_cmp_eq_u32_e32 vcc_lo, s47, v3
	v_cndmask_b32_e32 v3, v10, v7, vcc_lo
	v_cmp_eq_u32_e32 vcc_lo, s47, v13
	v_add_nc_u64_e32 v[10:11], 2, v[8:9]
	v_cndmask_b32_e32 v5, v16, v5, vcc_lo
	s_delay_alu instid0(VALU_DEP_4) | instskip(NEXT) | instid1(VALU_DEP_2)
	v_cmp_ne_u32_e32 vcc_lo, 0, v3
	v_cmp_ne_u32_e64 s0, 0, v5
	s_delay_alu instid0(VALU_DEP_4) | instskip(NEXT) | instid1(VALU_DEP_1)
	v_dual_cndmask_b32 v3, v15, v11, vcc_lo :: v_dual_cndmask_b32 v5, v14, v10, vcc_lo
	v_dual_cndmask_b32 v3, v9, v3, s0 :: v_dual_bitop2_b32 v6, s44, v6 bitop3:0x14
	s_delay_alu instid0(VALU_DEP_1) | instskip(NEXT) | instid1(VALU_DEP_2)
	v_dual_cndmask_b32 v5, v8, v5, s0 :: v_dual_mov_b32 v7, v6
	v_xor_b32_e32 v9, v3, v6
	s_delay_alu instid0(VALU_DEP_2) | instskip(NEXT) | instid1(VALU_DEP_1)
	v_xor_b32_e32 v8, v5, v6
	v_sub_nc_u64_e32 v[10:11], v[8:9], v[6:7]
.LBB21_10:                              ;   in Loop: Header=BB21_4 Depth=1
	s_and_not1_saveexec_b32 s0, s1
	s_cbranch_execz .LBB21_12
; %bb.11:                               ;   in Loop: Header=BB21_4 Depth=1
	v_cvt_f32_u32_e32 v3, s4
	s_sub_co_i32 s1, 0, s4
	v_mov_b32_e32 v11, v2
	s_delay_alu instid0(VALU_DEP_2) | instskip(SKIP_1) | instid1(TRANS32_DEP_1)
	v_rcp_iflag_f32_e32 v3, v3
	v_nop
	v_mul_f32_e32 v3, 0x4f7ffffe, v3
	s_delay_alu instid0(VALU_DEP_1) | instskip(NEXT) | instid1(VALU_DEP_1)
	v_cvt_u32_f32_e32 v3, v3
	v_mul_lo_u32 v5, s1, v3
	s_delay_alu instid0(VALU_DEP_1) | instskip(NEXT) | instid1(VALU_DEP_1)
	v_mul_hi_u32 v5, v3, v5
	v_add_nc_u32_e32 v3, v3, v5
	s_delay_alu instid0(VALU_DEP_1) | instskip(NEXT) | instid1(VALU_DEP_1)
	v_mul_hi_u32 v3, v4, v3
	v_mul_lo_u32 v5, v3, s4
	s_delay_alu instid0(VALU_DEP_1) | instskip(NEXT) | instid1(VALU_DEP_1)
	v_dual_add_nc_u32 v6, 1, v3 :: v_dual_sub_nc_u32 v5, v4, v5
	v_subrev_nc_u32_e32 v7, s4, v5
	v_cmp_le_u32_e32 vcc_lo, s4, v5
	s_delay_alu instid0(VALU_DEP_2) | instskip(NEXT) | instid1(VALU_DEP_1)
	v_dual_cndmask_b32 v5, v5, v7, vcc_lo :: v_dual_cndmask_b32 v3, v3, v6, vcc_lo
	v_cmp_le_u32_e32 vcc_lo, s4, v5
	s_delay_alu instid0(VALU_DEP_2) | instskip(NEXT) | instid1(VALU_DEP_1)
	v_add_nc_u32_e32 v6, 1, v3
	v_cndmask_b32_e32 v10, v3, v6, vcc_lo
.LBB21_12:                              ;   in Loop: Header=BB21_4 Depth=1
	s_or_b32 exec_lo, exec_lo, s0
	s_delay_alu instid0(VALU_DEP_1) | instskip(SKIP_2) | instid1(VALU_DEP_2)
	v_mul_lo_u32 v3, v10, s4
	s_mov_b32 s0, exec_lo
	v_dual_mov_b32 v6, 0 :: v_dual_mov_b32 v8, 0
	v_sub_nc_u32_e32 v3, v4, v3
	s_delay_alu instid0(VALU_DEP_1) | instskip(NEXT) | instid1(VALU_DEP_1)
	v_add_nc_u32_e32 v3, s16, v3
	v_cmpx_le_i32_e64 s12, v3
	s_cbranch_execz .LBB21_14
; %bb.13:                               ;   in Loop: Header=BB21_4 Depth=1
	v_subrev_nc_u32_e32 v8, s12, v3
	v_mov_b32_e32 v9, v2
	s_delay_alu instid0(VALU_DEP_1) | instskip(NEXT) | instid1(VALU_DEP_1)
	v_mul_u64_e32 v[14:15], s[30:31], v[8:9]
	v_mul_lo_u32 v5, v15, s25
	s_delay_alu instid0(VALU_DEP_1) | instskip(NEXT) | instid1(VALU_DEP_1)
	v_sub_nc_u32_e32 v5, v8, v5
	v_subrev_nc_u32_e32 v8, s25, v5
	v_cmp_le_u32_e32 vcc_lo, s25, v5
	s_delay_alu instid0(VALU_DEP_2) | instskip(NEXT) | instid1(VALU_DEP_1)
	v_dual_add_nc_u32 v7, 1, v15 :: v_dual_cndmask_b32 v5, v5, v8, vcc_lo
	v_cndmask_b32_e32 v7, v15, v7, vcc_lo
	s_delay_alu instid0(VALU_DEP_2) | instskip(NEXT) | instid1(VALU_DEP_2)
	v_cmp_le_u32_e32 vcc_lo, s25, v5
	v_add_nc_u32_e32 v8, 1, v7
	s_delay_alu instid0(VALU_DEP_1) | instskip(NEXT) | instid1(VALU_DEP_1)
	v_cndmask_b32_e32 v5, v7, v8, vcc_lo
	v_xor_b32_e32 v5, s50, v5
	s_delay_alu instid0(VALU_DEP_1) | instskip(NEXT) | instid1(VALU_DEP_1)
	v_subrev_nc_u32_e32 v5, s50, v5
	v_add_nc_u32_e32 v8, 1, v5
.LBB21_14:                              ;   in Loop: Header=BB21_4 Depth=1
	s_or_b32 exec_lo, exec_lo, s0
	v_mul_lo_u32 v4, v4, s6
	s_mov_b32 s0, exec_lo
	s_delay_alu instid0(VALU_DEP_1) | instskip(NEXT) | instid1(VALU_DEP_1)
	v_sub_nc_u32_e32 v4, v0, v4
	v_add_nc_u32_e32 v4, s17, v4
	s_delay_alu instid0(VALU_DEP_1)
	v_cmpx_le_i32_e64 s13, v4
	s_cbranch_execz .LBB21_16
; %bb.15:                               ;   in Loop: Header=BB21_4 Depth=1
	v_subrev_nc_u32_e32 v6, s13, v4
	v_mov_b32_e32 v7, v2
	s_delay_alu instid0(VALU_DEP_1) | instskip(NEXT) | instid1(VALU_DEP_1)
	v_mul_u64_e32 v[14:15], s[34:35], v[6:7]
	v_mul_lo_u32 v5, v15, s33
	s_delay_alu instid0(VALU_DEP_1) | instskip(NEXT) | instid1(VALU_DEP_1)
	v_dual_sub_nc_u32 v5, v6, v5 :: v_dual_add_nc_u32 v6, 1, v15
	v_cmp_le_u32_e32 vcc_lo, s33, v5
	s_delay_alu instid0(VALU_DEP_2) | instskip(SKIP_1) | instid1(VALU_DEP_1)
	v_cndmask_b32_e32 v6, v15, v6, vcc_lo
	v_subrev_nc_u32_e32 v7, s33, v5
	v_dual_cndmask_b32 v5, v5, v7, vcc_lo :: v_dual_add_nc_u32 v7, 1, v6
	s_delay_alu instid0(VALU_DEP_1) | instskip(NEXT) | instid1(VALU_DEP_2)
	v_cmp_le_u32_e32 vcc_lo, s33, v5
	v_cndmask_b32_e32 v5, v6, v7, vcc_lo
	s_delay_alu instid0(VALU_DEP_1) | instskip(NEXT) | instid1(VALU_DEP_1)
	v_xor_b32_e32 v5, s51, v5
	v_subrev_nc_u32_e32 v5, s51, v5
	s_delay_alu instid0(VALU_DEP_1)
	v_add_nc_u32_e32 v6, 1, v5
.LBB21_16:                              ;   in Loop: Header=BB21_4 Depth=1
	s_or_b32 exec_lo, exec_lo, s0
	v_dual_sub_nc_u32 v5, 0, v3 :: v_dual_mov_b32 v15, v2
	s_mov_b32 s22, exec_lo
	s_delay_alu instid0(VALU_DEP_1) | instskip(NEXT) | instid1(VALU_DEP_1)
	v_dual_ashrrev_i32 v3, 31, v3 :: v_dual_max_i32 v14, v3, v5
	v_mul_u64_e32 v[16:17], s[30:31], v[14:15]
	s_delay_alu instid0(VALU_DEP_1) | instskip(SKIP_1) | instid1(VALU_DEP_1)
	v_dual_add_nc_u32 v7, 1, v17 :: v_dual_bitop2_b32 v3, s50, v3 bitop3:0x14
	v_mul_lo_u32 v5, v17, s25
	v_sub_nc_u32_e32 v5, v14, v5
	s_delay_alu instid0(VALU_DEP_1) | instskip(SKIP_2) | instid1(VALU_DEP_1)
	v_subrev_nc_u32_e32 v9, s25, v5
	v_cmp_le_u32_e32 vcc_lo, s25, v5
	v_cndmask_b32_e32 v7, v17, v7, vcc_lo
	v_dual_cndmask_b32 v5, v5, v9, vcc_lo :: v_dual_add_nc_u32 v9, 1, v7
	s_delay_alu instid0(VALU_DEP_1) | instskip(NEXT) | instid1(VALU_DEP_2)
	v_cmp_le_u32_e32 vcc_lo, s25, v5
	v_dual_cndmask_b32 v5, v7, v9, vcc_lo :: v_dual_mov_b32 v7, 0
	s_delay_alu instid0(VALU_DEP_1) | instskip(NEXT) | instid1(VALU_DEP_1)
	v_xor_b32_e32 v5, v5, v3
	v_sub_nc_u32_e32 v3, v5, v3
	s_delay_alu instid0(VALU_DEP_1) | instskip(NEXT) | instid1(VALU_DEP_1)
	v_add_min_i32_e64 v3, v3, 1, s8
	v_cmpx_lt_i32_e64 v8, v3
	s_cbranch_execz .LBB21_3
; %bb.17:                               ;   in Loop: Header=BB21_4 Depth=1
	v_dual_sub_nc_u32 v5, 0, v4 :: v_dual_mov_b32 v15, v2
	s_mov_b32 s43, 0
	s_delay_alu instid0(VALU_DEP_1) | instskip(SKIP_1) | instid1(VALU_DEP_2)
	v_dual_ashrrev_i32 v9, 31, v8 :: v_dual_max_i32 v14, v4, v5
	v_ashrrev_i32_e32 v4, 31, v4
	v_lshlrev_b64_e32 v[18:19], 1, v[8:9]
	s_delay_alu instid0(VALU_DEP_3) | instskip(NEXT) | instid1(VALU_DEP_3)
	v_mul_u64_e32 v[16:17], s[34:35], v[14:15]
	v_xor_b32_e32 v4, s51, v4
	s_delay_alu instid0(VALU_DEP_3) | instskip(NEXT) | instid1(VALU_DEP_1)
	v_mad_nc_u64_u32 v[18:19], s36, v10, v[18:19]
	v_mad_u32 v9, s37, v10, v19
	s_delay_alu instid0(VALU_DEP_1) | instskip(SKIP_1) | instid1(VALU_DEP_1)
	v_mad_u32 v9, s36, v11, v9
	v_mul_lo_u32 v5, v17, s33
	v_dual_ashrrev_i32 v7, 31, v6 :: v_dual_sub_nc_u32 v5, v14, v5
	s_delay_alu instid0(VALU_DEP_1) | instskip(SKIP_1) | instid1(VALU_DEP_3)
	v_lshlrev_b64_e32 v[20:21], 1, v[6:7]
	v_add_nc_u32_e32 v7, 1, v17
	v_subrev_nc_u32_e32 v10, s33, v5
	v_cmp_le_u32_e32 vcc_lo, s33, v5
	s_delay_alu instid0(VALU_DEP_4) | instskip(NEXT) | instid1(VALU_DEP_4)
	v_mad_nc_u64_u32 v[20:21], s10, v18, v[20:21]
	v_cndmask_b32_e32 v7, v17, v7, vcc_lo
	s_delay_alu instid0(VALU_DEP_1) | instskip(NEXT) | instid1(VALU_DEP_1)
	v_dual_cndmask_b32 v5, v5, v10 :: v_dual_add_nc_u32 v10, 1, v7
	v_cmp_le_u32_e32 vcc_lo, s33, v5
	s_delay_alu instid0(VALU_DEP_4) | instskip(NEXT) | instid1(VALU_DEP_3)
	v_mad_u32 v11, s11, v18, v21
	v_cndmask_b32_e32 v5, v7, v10, vcc_lo
	v_mul_lo_u32 v7, s15, v6
	s_delay_alu instid0(VALU_DEP_3) | instskip(NEXT) | instid1(VALU_DEP_2)
	v_mad_u32 v21, s10, v9, v11
	v_dual_add_nc_u32 v13, s9, v7 :: v_dual_bitop2_b32 v5, v5, v4 bitop3:0x14
	v_dual_add_nc_u32 v14, s52, v7 :: v_dual_sub_nc_u32 v15, s17, v7
	s_delay_alu instid0(VALU_DEP_2) | instskip(NEXT) | instid1(VALU_DEP_1)
	v_dual_mov_b32 v7, 0 :: v_dual_sub_nc_u32 v4, v5, v4
	v_add_min_i32_e64 v9, v4, 1, s10
	s_wait_kmcnt 0x0
	v_add_nc_u64_e32 v[4:5], s[26:27], v[20:21]
	s_delay_alu instid0(VALU_DEP_2)
	v_cmp_lt_i32_e64 s0, v6, v9
	s_branch .LBB21_20
.LBB21_18:                              ;   in Loop: Header=BB21_20 Depth=2
	s_or_b32 exec_lo, exec_lo, s46
.LBB21_19:                              ;   in Loop: Header=BB21_20 Depth=2
	s_delay_alu instid0(SALU_CYCLE_1) | instskip(SKIP_2) | instid1(VALU_DEP_2)
	s_or_b32 exec_lo, exec_lo, s45
	v_add_nc_u32_e32 v8, 1, v8
	v_add_nc_u64_e32 v[4:5], s[38:39], v[4:5]
	v_cmp_ge_i32_e32 vcc_lo, v8, v3
	s_or_b32 s43, vcc_lo, s43
	s_delay_alu instid0(SALU_CYCLE_1)
	s_and_not1_b32 exec_lo, exec_lo, s43
	s_cbranch_execz .LBB21_2
.LBB21_20:                              ;   Parent Loop BB21_4 Depth=1
                                        ; =>  This Loop Header: Depth=2
                                        ;       Child Loop BB21_23 Depth 3
	s_delay_alu instid0(VALU_DEP_1)
	s_and_saveexec_b32 s45, s0
	s_cbranch_execz .LBB21_19
; %bb.21:                               ;   in Loop: Header=BB21_20 Depth=2
	v_mul_lo_u32 v10, v8, s14
	s_mov_b32 s46, 0
	v_mov_b32_e32 v17, v14
	s_delay_alu instid0(VALU_DEP_2) | instskip(SKIP_2) | instid1(VALU_DEP_3)
	v_subrev_nc_u32_e32 v19, s16, v10
	v_mov_b32_e32 v16, v15
	v_mov_b64_e32 v[10:11], v[4:5]
	v_add_min_i32_e64 v20, v19, s12, s48
	v_dual_mov_b32 v18, v13 :: v_dual_max_i32 v21, 0, v19
	s_delay_alu instid0(VALU_DEP_2) | instskip(NEXT) | instid1(VALU_DEP_1)
	v_dual_sub_nc_u32 v19, v20, v19 :: v_dual_min_i32 v22, s4, v20
	v_cmp_gt_i32_e64 s1, v22, v21
	v_sub_nc_u32_e32 v20, v22, v21
	v_mov_b32_e32 v21, v6
	s_branch .LBB21_23
.LBB21_22:                              ;   in Loop: Header=BB21_23 Depth=3
	s_wait_xcnt 0x0
	s_or_b32 exec_lo, exec_lo, s47
	v_dual_add_nc_u32 v21, 1, v21 :: v_dual_add_nc_u32 v18, s15, v18
	v_add_nc_u64_e32 v[10:11], 2, v[10:11]
	v_add_nc_u32_e32 v17, s15, v17
	v_subrev_nc_u32_e32 v16, s15, v16
	s_delay_alu instid0(VALU_DEP_4) | instskip(SKIP_1) | instid1(SALU_CYCLE_1)
	v_cmp_ge_i32_e32 vcc_lo, v21, v9
	s_or_b32 s46, vcc_lo, s46
	s_and_not1_b32 exec_lo, exec_lo, s46
	s_cbranch_execz .LBB21_18
.LBB21_23:                              ;   Parent Loop BB21_4 Depth=1
                                        ;     Parent Loop BB21_20 Depth=2
                                        ; =>    This Inner Loop Header: Depth=3
	v_dual_add_nc_u32 v23, s13, v18 :: v_dual_max_i32 v22, 0, v18
	s_delay_alu instid0(VALU_DEP_1) | instskip(NEXT) | instid1(VALU_DEP_1)
	v_min3_i32 v23, v23, s49, s6
	v_cmp_gt_i32_e32 vcc_lo, v23, v22
	s_and_b32 s54, s1, vcc_lo
	s_delay_alu instid0(SALU_CYCLE_1)
	s_and_saveexec_b32 s47, s54
	s_cbranch_execz .LBB21_22
; %bb.24:                               ;   in Loop: Header=BB21_23 Depth=3
	global_load_u16 v24, v[10:11], off
	v_dual_sub_nc_u32 v22, v23, v22 :: v_dual_min_i32 v25, s49, v17
	s_delay_alu instid0(VALU_DEP_1) | instskip(NEXT) | instid1(VALU_DEP_2)
	v_add_nc_u32_e32 v23, v25, v16
	v_mul_lo_u32 v22, v22, v20
	s_delay_alu instid0(VALU_DEP_2) | instskip(NEXT) | instid1(VALU_DEP_1)
	v_mul_lo_u32 v23, v23, v19
	v_cndmask_b32_e64 v22, v22, v23, s2
	s_delay_alu instid0(VALU_DEP_1) | instskip(NEXT) | instid1(VALU_DEP_1)
	v_cndmask_b32_e64 v22, v22, s24, s3
	v_cvt_f32_i32_e32 v22, v22
	s_delay_alu instid0(VALU_DEP_1) | instskip(NEXT) | instid1(VALU_DEP_1)
	v_bfe_u32 v23, v22, 16, 1
	v_add3_u32 v22, v22, v23, 0x7fff
	s_delay_alu instid0(VALU_DEP_1) | instskip(SKIP_2) | instid1(VALU_DEP_1)
	v_and_b32_e32 v22, 0xffff0000, v22
	s_wait_loadcnt 0x0
	v_lshlrev_b32_e32 v23, 16, v24
	v_div_scale_f32 v24, null, v22, v22, v23
	s_delay_alu instid0(VALU_DEP_1) | instskip(SKIP_1) | instid1(TRANS32_DEP_1)
	v_rcp_f32_e32 v25, v24
	v_nop
	v_fma_f32 v26, -v24, v25, 1.0
	s_delay_alu instid0(VALU_DEP_1) | instskip(SKIP_1) | instid1(VALU_DEP_1)
	v_fmac_f32_e32 v25, v26, v25
	v_div_scale_f32 v26, vcc_lo, v23, v22, v23
	v_mul_f32_e32 v27, v26, v25
	s_delay_alu instid0(VALU_DEP_1) | instskip(NEXT) | instid1(VALU_DEP_1)
	v_fma_f32 v28, -v24, v27, v26
	v_fmac_f32_e32 v27, v28, v25
	s_delay_alu instid0(VALU_DEP_1) | instskip(NEXT) | instid1(VALU_DEP_1)
	v_fma_f32 v24, -v24, v27, v26
	v_div_fmas_f32 v24, v24, v25, v27
	s_delay_alu instid0(VALU_DEP_1) | instskip(NEXT) | instid1(VALU_DEP_1)
	v_div_fixup_f32 v22, v24, v22, v23
	v_bfe_u32 v23, v22, 16, 1
	v_cmp_o_f32_e32 vcc_lo, v22, v22
	s_delay_alu instid0(VALU_DEP_2) | instskip(NEXT) | instid1(VALU_DEP_1)
	v_add3_u32 v23, v22, v23, 0x7fff
	v_and_b32_e32 v23, 0xffff0000, v23
	s_delay_alu instid0(VALU_DEP_1) | instskip(NEXT) | instid1(VALU_DEP_1)
	v_cndmask_b32_e32 v22, 0x7fc00000, v23, vcc_lo
	v_add_f32_e32 v7, v7, v22
	s_branch .LBB21_22
.LBB21_25:
	s_endpgm
	.section	.rodata,"a",@progbits
	.p2align	6, 0x0
	.amdhsa_kernel _ZN2at6native12_GLOBAL__N_134avg_pool2d_backward_out_cuda_frameIN3c108BFloat16EfiEEvT1_PKT_llllliiiiiiPS6_ibb
		.amdhsa_group_segment_fixed_size 0
		.amdhsa_private_segment_fixed_size 0
		.amdhsa_kernarg_size 352
		.amdhsa_user_sgpr_count 2
		.amdhsa_user_sgpr_dispatch_ptr 0
		.amdhsa_user_sgpr_queue_ptr 0
		.amdhsa_user_sgpr_kernarg_segment_ptr 1
		.amdhsa_user_sgpr_dispatch_id 0
		.amdhsa_user_sgpr_kernarg_preload_length 0
		.amdhsa_user_sgpr_kernarg_preload_offset 0
		.amdhsa_user_sgpr_private_segment_size 0
		.amdhsa_wavefront_size32 1
		.amdhsa_uses_dynamic_stack 0
		.amdhsa_enable_private_segment 0
		.amdhsa_system_sgpr_workgroup_id_x 1
		.amdhsa_system_sgpr_workgroup_id_y 0
		.amdhsa_system_sgpr_workgroup_id_z 0
		.amdhsa_system_sgpr_workgroup_info 0
		.amdhsa_system_vgpr_workitem_id 0
		.amdhsa_next_free_vgpr 29
		.amdhsa_next_free_sgpr 62
		.amdhsa_named_barrier_count 0
		.amdhsa_reserve_vcc 1
		.amdhsa_float_round_mode_32 0
		.amdhsa_float_round_mode_16_64 0
		.amdhsa_float_denorm_mode_32 3
		.amdhsa_float_denorm_mode_16_64 3
		.amdhsa_fp16_overflow 0
		.amdhsa_memory_ordered 1
		.amdhsa_forward_progress 1
		.amdhsa_inst_pref_size 25
		.amdhsa_round_robin_scheduling 0
		.amdhsa_exception_fp_ieee_invalid_op 0
		.amdhsa_exception_fp_denorm_src 0
		.amdhsa_exception_fp_ieee_div_zero 0
		.amdhsa_exception_fp_ieee_overflow 0
		.amdhsa_exception_fp_ieee_underflow 0
		.amdhsa_exception_fp_ieee_inexact 0
		.amdhsa_exception_int_div_zero 0
	.end_amdhsa_kernel
	.section	.text._ZN2at6native12_GLOBAL__N_134avg_pool2d_backward_out_cuda_frameIN3c108BFloat16EfiEEvT1_PKT_llllliiiiiiPS6_ibb,"axG",@progbits,_ZN2at6native12_GLOBAL__N_134avg_pool2d_backward_out_cuda_frameIN3c108BFloat16EfiEEvT1_PKT_llllliiiiiiPS6_ibb,comdat
.Lfunc_end21:
	.size	_ZN2at6native12_GLOBAL__N_134avg_pool2d_backward_out_cuda_frameIN3c108BFloat16EfiEEvT1_PKT_llllliiiiiiPS6_ibb, .Lfunc_end21-_ZN2at6native12_GLOBAL__N_134avg_pool2d_backward_out_cuda_frameIN3c108BFloat16EfiEEvT1_PKT_llllliiiiiiPS6_ibb
                                        ; -- End function
	.set _ZN2at6native12_GLOBAL__N_134avg_pool2d_backward_out_cuda_frameIN3c108BFloat16EfiEEvT1_PKT_llllliiiiiiPS6_ibb.num_vgpr, 29
	.set _ZN2at6native12_GLOBAL__N_134avg_pool2d_backward_out_cuda_frameIN3c108BFloat16EfiEEvT1_PKT_llllliiiiiiPS6_ibb.num_agpr, 0
	.set _ZN2at6native12_GLOBAL__N_134avg_pool2d_backward_out_cuda_frameIN3c108BFloat16EfiEEvT1_PKT_llllliiiiiiPS6_ibb.numbered_sgpr, 62
	.set _ZN2at6native12_GLOBAL__N_134avg_pool2d_backward_out_cuda_frameIN3c108BFloat16EfiEEvT1_PKT_llllliiiiiiPS6_ibb.num_named_barrier, 0
	.set _ZN2at6native12_GLOBAL__N_134avg_pool2d_backward_out_cuda_frameIN3c108BFloat16EfiEEvT1_PKT_llllliiiiiiPS6_ibb.private_seg_size, 0
	.set _ZN2at6native12_GLOBAL__N_134avg_pool2d_backward_out_cuda_frameIN3c108BFloat16EfiEEvT1_PKT_llllliiiiiiPS6_ibb.uses_vcc, 1
	.set _ZN2at6native12_GLOBAL__N_134avg_pool2d_backward_out_cuda_frameIN3c108BFloat16EfiEEvT1_PKT_llllliiiiiiPS6_ibb.uses_flat_scratch, 0
	.set _ZN2at6native12_GLOBAL__N_134avg_pool2d_backward_out_cuda_frameIN3c108BFloat16EfiEEvT1_PKT_llllliiiiiiPS6_ibb.has_dyn_sized_stack, 0
	.set _ZN2at6native12_GLOBAL__N_134avg_pool2d_backward_out_cuda_frameIN3c108BFloat16EfiEEvT1_PKT_llllliiiiiiPS6_ibb.has_recursion, 0
	.set _ZN2at6native12_GLOBAL__N_134avg_pool2d_backward_out_cuda_frameIN3c108BFloat16EfiEEvT1_PKT_llllliiiiiiPS6_ibb.has_indirect_call, 0
	.section	.AMDGPU.csdata,"",@progbits
; Kernel info:
; codeLenInByte = 3140
; TotalNumSgprs: 64
; NumVgprs: 29
; ScratchSize: 0
; MemoryBound: 0
; FloatMode: 240
; IeeeMode: 1
; LDSByteSize: 0 bytes/workgroup (compile time only)
; SGPRBlocks: 0
; VGPRBlocks: 1
; NumSGPRsForWavesPerEU: 64
; NumVGPRsForWavesPerEU: 29
; NamedBarCnt: 0
; Occupancy: 16
; WaveLimiterHint : 0
; COMPUTE_PGM_RSRC2:SCRATCH_EN: 0
; COMPUTE_PGM_RSRC2:USER_SGPR: 2
; COMPUTE_PGM_RSRC2:TRAP_HANDLER: 0
; COMPUTE_PGM_RSRC2:TGID_X_EN: 1
; COMPUTE_PGM_RSRC2:TGID_Y_EN: 0
; COMPUTE_PGM_RSRC2:TGID_Z_EN: 0
; COMPUTE_PGM_RSRC2:TIDIG_COMP_CNT: 0
	.section	.text._ZN2at6native12_GLOBAL__N_139avg_pool2d_backward_out_cuda_frame_nhwcIN3c108BFloat16EflEEvT1_PKT_llliiiiiiiiPS6_ibb,"axG",@progbits,_ZN2at6native12_GLOBAL__N_139avg_pool2d_backward_out_cuda_frame_nhwcIN3c108BFloat16EflEEvT1_PKT_llliiiiiiiiPS6_ibb,comdat
	.globl	_ZN2at6native12_GLOBAL__N_139avg_pool2d_backward_out_cuda_frame_nhwcIN3c108BFloat16EflEEvT1_PKT_llliiiiiiiiPS6_ibb ; -- Begin function _ZN2at6native12_GLOBAL__N_139avg_pool2d_backward_out_cuda_frame_nhwcIN3c108BFloat16EflEEvT1_PKT_llliiiiiiiiPS6_ibb
	.p2align	8
	.type	_ZN2at6native12_GLOBAL__N_139avg_pool2d_backward_out_cuda_frame_nhwcIN3c108BFloat16EflEEvT1_PKT_llliiiiiiiiPS6_ibb,@function
_ZN2at6native12_GLOBAL__N_139avg_pool2d_backward_out_cuda_frame_nhwcIN3c108BFloat16EflEEvT1_PKT_llliiiiiiiiPS6_ibb: ; @_ZN2at6native12_GLOBAL__N_139avg_pool2d_backward_out_cuda_frame_nhwcIN3c108BFloat16EflEEvT1_PKT_llliiiiiiiiPS6_ibb
; %bb.0:
	s_load_b32 s2, s[0:1], 0x64
	s_bfe_u32 s4, ttmp6, 0x4000c
	v_mov_b32_e32 v2, 0
	s_add_co_i32 s13, s4, 1
	s_load_b256 s[4:11], s[0:1], 0x0
	s_and_b32 s3, ttmp6, 15
	s_mul_i32 s13, ttmp9, s13
	s_getreg_b32 s12, hwreg(HW_REG_IB_STS2, 6, 4)
	v_mov_b32_e32 v1, v2
	s_add_co_i32 s3, s3, s13
	s_wait_kmcnt 0x0
	s_and_b32 s2, s2, 0xffff
	s_cmp_eq_u32 s12, 0
	s_mov_b32 s12, exec_lo
	s_cselect_b32 s3, ttmp9, s3
	s_delay_alu instid0(SALU_CYCLE_1) | instskip(SKIP_1) | instid1(VALU_DEP_1)
	v_mad_nc_u64_u32 v[0:1], s2, s3, v[0:1]
	s_mov_b32 s3, 0
	v_cmpx_gt_i64_e64 s[4:5], v[0:1]
	s_cbranch_execz .LBB22_29
; %bb.1:
	s_clause 0x2
	s_load_b128 s[20:23], s[0:1], 0x48
	s_load_b256 s[12:19], s[0:1], 0x28
	s_load_b32 s28, s[0:1], 0x54
	v_cvt_f32_u32_e32 v3, s8
	s_add_nc_u64 s[26:27], s[0:1], 0x58
	s_load_b32 s30, s[26:27], 0x0
	s_load_b64 s[24:25], s[0:1], 0x20
	s_wait_xcnt 0x0
	s_mov_b32 s27, s3
	v_rcp_iflag_f32_e32 v3, v3
	s_mov_b32 s29, s3
	s_mov_b32 s31, s3
	s_mov_b64 s[34:35], 0xffffffff
	s_mov_b32 s51, 0
	v_nop
	s_delay_alu instid0(TRANS32_DEP_1) | instskip(NEXT) | instid1(VALU_DEP_1)
	v_mul_f32_e32 v3, 0x4f7ffffe, v3
	v_cvt_u32_f32_e32 v10, v3
	s_wait_kmcnt 0x0
	s_bitcmp1_b32 s23, 0
	s_mov_b32 s38, s12
	s_cselect_b32 s0, -1, 0
	s_bitcmp1_b32 s28, 8
	s_mul_i32 s26, s30, s2
	s_cselect_b32 s23, -1, 0
	s_abs_i32 s33, s16
	s_abs_i32 s44, s17
	s_cvt_f32_u32 s1, s33
	s_cvt_f32_u32 s28, s44
	s_sub_co_i32 s30, 0, s44
	s_ashr_i32 s39, s12, 31
	v_rcp_iflag_f32_e32 v3, s1
	v_rcp_iflag_f32_e32 v4, s28
	s_sub_co_i32 s28, 0, s33
	s_mov_b32 s40, s13
	s_ashr_i32 s41, s13, 31
	s_mul_u64 s[38:39], s[8:9], s[38:39]
	s_add_co_i32 s45, s18, s10
	v_readfirstlane_b32 s1, v3
	v_readfirstlane_b32 s2, v4
	s_add_co_i32 s46, s19, s24
	s_ashr_i32 s47, s16, 31
	s_ashr_i32 s48, s17, 31
	s_mul_f32 s1, s1, 0x4f7ffffe
	s_mul_f32 s2, s2, 0x4f7ffffe
	s_sub_co_i32 s49, 0, s19
	s_sub_co_i32 s50, s15, s19
	s_cvt_u32_f32 s1, s1
	s_cvt_u32_f32 s2, s2
	s_ashr_i32 s36, s9, 31
	s_mul_u64 s[38:39], s[38:39], s[40:41]
	s_mul_i32 s28, s28, s1
	s_mul_i32 s30, s30, s2
	s_mul_hi_u32 s28, s1, s28
	s_mul_hi_u32 s30, s2, s30
	s_add_co_i32 s28, s1, s28
	s_add_co_i32 s30, s2, s30
	s_branch .LBB22_4
.LBB22_2:                               ;   in Loop: Header=BB22_4 Depth=1
	s_or_b32 exec_lo, exec_lo, s40
.LBB22_3:                               ;   in Loop: Header=BB22_4 Depth=1
	s_delay_alu instid0(SALU_CYCLE_1) | instskip(NEXT) | instid1(VALU_DEP_2)
	s_or_b32 exec_lo, exec_lo, s37
	v_bfe_u32 v6, v3, 16, 1
	v_lshl_add_u64 v[4:5], v[0:1], 1, s[20:21]
	v_add_nc_u64_e32 v[0:1], s[26:27], v[0:1]
	v_cmp_o_f32_e64 s1, v3, v3
	s_delay_alu instid0(VALU_DEP_4) | instskip(NEXT) | instid1(VALU_DEP_3)
	v_add3_u32 v6, v3, v6, 0x7fff
	v_cmp_le_i64_e32 vcc_lo, s[4:5], v[0:1]
	s_delay_alu instid0(VALU_DEP_2) | instskip(NEXT) | instid1(VALU_DEP_1)
	v_lshrrev_b32_e32 v6, 16, v6
	v_cndmask_b32_e64 v3, 0x7fc0, v6, s1
	s_or_b32 s51, vcc_lo, s51
	global_store_b16 v[4:5], v3, off
	s_wait_xcnt 0x0
	s_and_not1_b32 exec_lo, exec_lo, s51
	s_cbranch_execz .LBB22_29
.LBB22_4:                               ; =>This Loop Header: Depth=1
                                        ;     Child Loop BB22_24 Depth 2
                                        ;       Child Loop BB22_27 Depth 3
	v_or_b32_e32 v3, s9, v1
                                        ; implicit-def: $vgpr4_vgpr5
	s_mov_b32 s1, exec_lo
	s_delay_alu instid0(VALU_DEP_1)
	v_cmpx_ne_u64_e32 0, v[2:3]
	s_xor_b32 s42, exec_lo, s1
	s_cbranch_execz .LBB22_6
; %bb.5:                                ;   in Loop: Header=BB22_4 Depth=1
	s_mov_b32 s37, s36
	v_dual_mov_b32 v9, v2 :: v_dual_ashrrev_i32 v4, 31, v1
	s_add_nc_u64 s[40:41], s[8:9], s[36:37]
	v_mov_b32_e32 v19, v2
	s_xor_b64 s[40:41], s[40:41], s[36:37]
	s_delay_alu instid0(VALU_DEP_2) | instskip(SKIP_3) | instid1(VALU_DEP_1)
	v_mov_b32_e32 v5, v4
	s_cvt_f32_u32 s1, s40
	s_cvt_f32_u32 s2, s41
	s_sub_nc_u64 s[54:55], 0, s[40:41]
	v_add_nc_u64_e32 v[6:7], v[0:1], v[4:5]
	s_delay_alu instid0(SALU_CYCLE_1) | instskip(SKIP_1) | instid1(SALU_CYCLE_2)
	s_fmamk_f32 s1, s2, 0x4f800000, s1
	v_mov_b32_e32 v15, v2
	v_s_rcp_f32 s1, s1
	s_delay_alu instid0(VALU_DEP_2) | instskip(NEXT) | instid1(VALU_DEP_3)
	v_xor_b32_e32 v8, v6, v4
	v_xor_b32_e32 v14, v7, v4
	;; [unrolled: 1-line block ×3, first 2 shown]
	s_delay_alu instid0(TRANS32_DEP_1) | instskip(NEXT) | instid1(SALU_CYCLE_3)
	s_mul_f32 s1, s1, 0x5f7ffffc
	s_mul_f32 s2, s1, 0x2f800000
	s_delay_alu instid0(SALU_CYCLE_3) | instskip(NEXT) | instid1(SALU_CYCLE_3)
	s_trunc_f32 s2, s2
	s_fmamk_f32 s1, s2, 0xcf800000, s1
	s_cvt_u32_f32 s53, s2
	s_delay_alu instid0(SALU_CYCLE_2) | instskip(NEXT) | instid1(SALU_CYCLE_3)
	s_cvt_u32_f32 s52, s1
	s_mul_u64 s[56:57], s[54:55], s[52:53]
	s_delay_alu instid0(SALU_CYCLE_1)
	s_mul_hi_u32 s59, s52, s57
	s_mul_i32 s58, s52, s57
	s_mul_hi_u32 s2, s52, s56
	s_mul_i32 s37, s53, s56
	s_add_nc_u64 s[58:59], s[2:3], s[58:59]
	s_mul_hi_u32 s1, s53, s56
	s_mul_hi_u32 s43, s53, s57
	s_add_co_u32 s2, s58, s37
	s_add_co_ci_u32 s2, s59, s1
	s_mul_i32 s56, s53, s57
	s_add_co_ci_u32 s57, s43, 0
	s_delay_alu instid0(SALU_CYCLE_1) | instskip(NEXT) | instid1(SALU_CYCLE_1)
	s_add_nc_u64 s[56:57], s[2:3], s[56:57]
	s_add_co_u32 s52, s52, s56
	s_cselect_b32 s1, -1, 0
	s_delay_alu instid0(SALU_CYCLE_1) | instskip(SKIP_1) | instid1(SALU_CYCLE_1)
	s_cmp_lg_u32 s1, 0
	s_add_co_ci_u32 s53, s53, s57
	s_mul_u64 s[54:55], s[54:55], s[52:53]
	s_delay_alu instid0(SALU_CYCLE_1)
	s_mul_hi_u32 s57, s52, s55
	s_mul_i32 s56, s52, s55
	s_mul_hi_u32 s2, s52, s54
	s_mul_i32 s37, s53, s54
	s_add_nc_u64 s[56:57], s[2:3], s[56:57]
	s_mul_hi_u32 s1, s53, s54
	s_mul_hi_u32 s43, s53, s55
	s_add_co_u32 s2, s56, s37
	s_add_co_ci_u32 s2, s57, s1
	s_mul_i32 s54, s53, s55
	s_add_co_ci_u32 s55, s43, 0
	s_delay_alu instid0(SALU_CYCLE_1) | instskip(NEXT) | instid1(SALU_CYCLE_1)
	s_add_nc_u64 s[54:55], s[2:3], s[54:55]
	s_add_co_u32 s52, s52, s54
	s_cselect_b32 s1, -1, 0
	v_mul_hi_u32 v18, v8, s52
	s_cmp_lg_u32 s1, 0
	s_add_co_ci_u32 s2, s53, s55
	s_and_b64 s[54:55], s[52:53], s[34:35]
	v_mul_u64_e32 v[12:13], s[2:3], v[8:9]
	v_mul_u64_e32 v[6:7], s[54:55], v[14:15]
	;; [unrolled: 1-line block ×3, first 2 shown]
	s_delay_alu instid0(VALU_DEP_3) | instskip(NEXT) | instid1(VALU_DEP_1)
	v_add_nc_u64_e32 v[12:13], v[18:19], v[12:13]
	v_add_co_u32 v3, vcc_lo, v12, v6
	s_delay_alu instid0(VALU_DEP_2) | instskip(NEXT) | instid1(VALU_DEP_4)
	v_add_co_ci_u32_e32 v18, vcc_lo, v13, v7, vcc_lo
	v_add_co_ci_u32_e32 v17, vcc_lo, 0, v17, vcc_lo
	s_delay_alu instid0(VALU_DEP_1) | instskip(NEXT) | instid1(VALU_DEP_1)
	v_add_nc_u64_e32 v[6:7], v[18:19], v[16:17]
	v_mul_u64_e32 v[12:13], s[40:41], v[6:7]
	s_delay_alu instid0(VALU_DEP_1) | instskip(NEXT) | instid1(VALU_DEP_2)
	v_sub_nc_u32_e32 v3, v14, v13
	v_sub_co_u32 v5, vcc_lo, v8, v12
	s_delay_alu instid0(VALU_DEP_1) | instskip(NEXT) | instid1(VALU_DEP_3)
	v_sub_co_ci_u32_e64 v11, null, v14, v13, vcc_lo
	v_subrev_co_ci_u32_e64 v3, null, s41, v3, vcc_lo
	s_delay_alu instid0(VALU_DEP_3) | instskip(SKIP_1) | instid1(VALU_DEP_3)
	v_sub_co_u32 v8, s1, v5, s40
	v_add_nc_u64_e32 v[12:13], 1, v[6:7]
	v_subrev_co_ci_u32_e64 v3, null, 0, v3, s1
	s_delay_alu instid0(VALU_DEP_3) | instskip(SKIP_1) | instid1(VALU_DEP_3)
	v_cmp_le_u32_e32 vcc_lo, s40, v8
	v_cndmask_b32_e64 v8, 0, -1, vcc_lo
	v_cmp_le_u32_e32 vcc_lo, s41, v3
	v_cndmask_b32_e64 v9, 0, -1, vcc_lo
	;; [unrolled: 2-line block ×4, first 2 shown]
	v_cmp_eq_u32_e32 vcc_lo, s41, v3
	v_cndmask_b32_e32 v3, v9, v8, vcc_lo
	v_cmp_eq_u32_e32 vcc_lo, s41, v11
	v_add_nc_u64_e32 v[8:9], 2, v[6:7]
	v_cndmask_b32_e32 v5, v14, v5, vcc_lo
	s_delay_alu instid0(VALU_DEP_4) | instskip(NEXT) | instid1(VALU_DEP_2)
	v_cmp_ne_u32_e32 vcc_lo, 0, v3
	v_cmp_ne_u32_e64 s1, 0, v5
	s_delay_alu instid0(VALU_DEP_4) | instskip(NEXT) | instid1(VALU_DEP_1)
	v_dual_cndmask_b32 v3, v13, v9, vcc_lo :: v_dual_cndmask_b32 v5, v12, v8, vcc_lo
	v_dual_cndmask_b32 v6, v6, v5, s1 :: v_dual_mov_b32 v5, v4
	s_delay_alu instid0(VALU_DEP_1) | instskip(NEXT) | instid1(VALU_DEP_1)
	v_dual_cndmask_b32 v3, v7, v3, s1 :: v_dual_bitop2_b32 v6, v6, v4 bitop3:0x14
	v_xor_b32_e32 v7, v3, v4
	s_delay_alu instid0(VALU_DEP_1)
	v_sub_nc_u64_e32 v[4:5], v[6:7], v[4:5]
.LBB22_6:                               ;   in Loop: Header=BB22_4 Depth=1
	s_and_not1_saveexec_b32 s1, s42
	s_cbranch_execz .LBB22_8
; %bb.7:                                ;   in Loop: Header=BB22_4 Depth=1
	s_sub_co_i32 s2, 0, s8
	s_delay_alu instid0(SALU_CYCLE_1) | instskip(NEXT) | instid1(VALU_DEP_1)
	v_mul_lo_u32 v3, s2, v10
	v_mul_hi_u32 v3, v10, v3
	s_delay_alu instid0(VALU_DEP_1) | instskip(NEXT) | instid1(VALU_DEP_1)
	v_add_nc_u32_e32 v3, v10, v3
	v_mul_hi_u32 v3, v0, v3
	s_delay_alu instid0(VALU_DEP_1) | instskip(NEXT) | instid1(VALU_DEP_1)
	v_mul_lo_u32 v4, v3, s8
	v_sub_nc_u32_e32 v4, v0, v4
	s_delay_alu instid0(VALU_DEP_1) | instskip(SKIP_1) | instid1(VALU_DEP_2)
	v_subrev_nc_u32_e32 v6, s8, v4
	v_cmp_le_u32_e32 vcc_lo, s8, v4
	v_dual_cndmask_b32 v4, v4, v6 :: v_dual_add_nc_u32 v5, 1, v3
	s_delay_alu instid0(VALU_DEP_1) | instskip(NEXT) | instid1(VALU_DEP_2)
	v_cndmask_b32_e32 v3, v3, v5, vcc_lo
	v_cmp_le_u32_e32 vcc_lo, s8, v4
	s_delay_alu instid0(VALU_DEP_2) | instskip(NEXT) | instid1(VALU_DEP_1)
	v_add_nc_u32_e32 v5, 1, v3
	v_dual_cndmask_b32 v4, v3, v5 :: v_dual_mov_b32 v5, v2
.LBB22_8:                               ;   in Loop: Header=BB22_4 Depth=1
	s_or_b32 exec_lo, exec_lo, s1
	s_delay_alu instid0(VALU_DEP_1) | instskip(SKIP_1) | instid1(VALU_DEP_1)
	v_or_b32_e32 v3, s25, v5
                                        ; implicit-def: $vgpr6_vgpr7
	s_mov_b32 s1, exec_lo
	v_cmpx_ne_u64_e32 0, v[2:3]
	s_xor_b32 s37, exec_lo, s1
	s_cbranch_execz .LBB22_10
; %bb.9:                                ;   in Loop: Header=BB22_4 Depth=1
	s_ashr_i32 s40, s25, 31
	v_dual_mov_b32 v13, v2 :: v_dual_ashrrev_i32 v6, 31, v5
	s_mov_b32 s41, s40
	s_delay_alu instid0(SALU_CYCLE_1) | instskip(NEXT) | instid1(VALU_DEP_1)
	s_add_nc_u64 s[42:43], s[24:25], s[40:41]
	v_mov_b32_e32 v7, v6
	s_xor_b64 s[42:43], s[42:43], s[40:41]
	s_delay_alu instid0(SALU_CYCLE_1)
	s_cvt_f32_u32 s1, s42
	s_cvt_f32_u32 s2, s43
	s_sub_nc_u64 s[54:55], 0, s[42:43]
	v_add_nc_u64_e32 v[8:9], v[4:5], v[6:7]
	v_mov_b32_e32 v17, v2
	s_fmamk_f32 s1, s2, 0x4f800000, s1
	s_delay_alu instid0(SALU_CYCLE_3) | instskip(NEXT) | instid1(VALU_DEP_2)
	v_s_rcp_f32 s1, s1
	v_xor_b32_e32 v12, v8, v6
	s_delay_alu instid0(VALU_DEP_3) | instskip(SKIP_1) | instid1(TRANS32_DEP_1)
	v_dual_mov_b32 v21, v2 :: v_dual_bitop2_b32 v16, v9, v6 bitop3:0x14
	v_xor_b32_e32 v6, s40, v6
	s_mul_f32 s1, s1, 0x5f7ffffc
	s_delay_alu instid0(SALU_CYCLE_3) | instskip(NEXT) | instid1(SALU_CYCLE_3)
	s_mul_f32 s2, s1, 0x2f800000
	s_trunc_f32 s2, s2
	s_delay_alu instid0(SALU_CYCLE_3) | instskip(SKIP_1) | instid1(SALU_CYCLE_2)
	s_fmamk_f32 s1, s2, 0xcf800000, s1
	s_cvt_u32_f32 s53, s2
	s_cvt_u32_f32 s52, s1
	s_delay_alu instid0(SALU_CYCLE_3) | instskip(NEXT) | instid1(SALU_CYCLE_1)
	s_mul_u64 s[56:57], s[54:55], s[52:53]
	s_mul_hi_u32 s59, s52, s57
	s_mul_i32 s58, s52, s57
	s_mul_hi_u32 s2, s52, s56
	s_mul_i32 s41, s53, s56
	s_add_nc_u64 s[58:59], s[2:3], s[58:59]
	s_mul_hi_u32 s1, s53, s56
	s_mul_hi_u32 s60, s53, s57
	s_add_co_u32 s2, s58, s41
	s_add_co_ci_u32 s2, s59, s1
	s_mul_i32 s56, s53, s57
	s_add_co_ci_u32 s57, s60, 0
	s_delay_alu instid0(SALU_CYCLE_1) | instskip(NEXT) | instid1(SALU_CYCLE_1)
	s_add_nc_u64 s[56:57], s[2:3], s[56:57]
	s_add_co_u32 s52, s52, s56
	s_cselect_b32 s1, -1, 0
	s_delay_alu instid0(SALU_CYCLE_1) | instskip(SKIP_1) | instid1(SALU_CYCLE_1)
	s_cmp_lg_u32 s1, 0
	s_add_co_ci_u32 s53, s53, s57
	s_mul_u64 s[54:55], s[54:55], s[52:53]
	s_delay_alu instid0(SALU_CYCLE_1)
	s_mul_hi_u32 s57, s52, s55
	s_mul_i32 s56, s52, s55
	s_mul_hi_u32 s2, s52, s54
	s_mul_i32 s41, s53, s54
	s_add_nc_u64 s[56:57], s[2:3], s[56:57]
	s_mul_hi_u32 s1, s53, s54
	s_mul_hi_u32 s58, s53, s55
	s_add_co_u32 s2, s56, s41
	s_add_co_ci_u32 s2, s57, s1
	s_mul_i32 s54, s53, s55
	s_add_co_ci_u32 s55, s58, 0
	s_delay_alu instid0(SALU_CYCLE_1) | instskip(NEXT) | instid1(SALU_CYCLE_1)
	s_add_nc_u64 s[54:55], s[2:3], s[54:55]
	s_add_co_u32 s52, s52, s54
	s_cselect_b32 s1, -1, 0
	v_mul_hi_u32 v20, v12, s52
	s_cmp_lg_u32 s1, 0
	s_add_co_ci_u32 s2, s53, s55
	s_and_b64 s[54:55], s[52:53], s[34:35]
	v_mul_u64_e32 v[14:15], s[2:3], v[12:13]
	v_mul_u64_e32 v[8:9], s[54:55], v[16:17]
	;; [unrolled: 1-line block ×3, first 2 shown]
	s_delay_alu instid0(VALU_DEP_3) | instskip(NEXT) | instid1(VALU_DEP_1)
	v_add_nc_u64_e32 v[14:15], v[20:21], v[14:15]
	v_add_co_u32 v3, vcc_lo, v14, v8
	s_delay_alu instid0(VALU_DEP_2) | instskip(NEXT) | instid1(VALU_DEP_4)
	v_add_co_ci_u32_e32 v20, vcc_lo, v15, v9, vcc_lo
	v_add_co_ci_u32_e32 v19, vcc_lo, 0, v19, vcc_lo
	s_delay_alu instid0(VALU_DEP_1) | instskip(NEXT) | instid1(VALU_DEP_1)
	v_add_nc_u64_e32 v[8:9], v[20:21], v[18:19]
	v_mul_u64_e32 v[14:15], s[42:43], v[8:9]
	s_delay_alu instid0(VALU_DEP_1) | instskip(NEXT) | instid1(VALU_DEP_2)
	v_sub_nc_u32_e32 v3, v16, v15
	v_sub_co_u32 v5, vcc_lo, v12, v14
	s_delay_alu instid0(VALU_DEP_1) | instskip(NEXT) | instid1(VALU_DEP_3)
	v_sub_co_ci_u32_e64 v11, null, v16, v15, vcc_lo
	v_subrev_co_ci_u32_e64 v3, null, s43, v3, vcc_lo
	s_delay_alu instid0(VALU_DEP_3) | instskip(SKIP_1) | instid1(VALU_DEP_3)
	v_sub_co_u32 v7, s1, v5, s42
	v_add_nc_u64_e32 v[14:15], 1, v[8:9]
	v_subrev_co_ci_u32_e64 v3, null, 0, v3, s1
	s_delay_alu instid0(VALU_DEP_3) | instskip(SKIP_1) | instid1(VALU_DEP_3)
	v_cmp_le_u32_e32 vcc_lo, s42, v7
	v_cndmask_b32_e64 v7, 0, -1, vcc_lo
	v_cmp_le_u32_e32 vcc_lo, s43, v3
	v_cndmask_b32_e64 v12, 0, -1, vcc_lo
	;; [unrolled: 2-line block ×4, first 2 shown]
	v_cmp_eq_u32_e32 vcc_lo, s43, v3
	v_cndmask_b32_e32 v3, v12, v7, vcc_lo
	v_cmp_eq_u32_e32 vcc_lo, s43, v11
	v_add_nc_u64_e32 v[12:13], 2, v[8:9]
	v_dual_mov_b32 v7, v6 :: v_dual_cndmask_b32 v5, v16, v5, vcc_lo
	s_delay_alu instid0(VALU_DEP_4) | instskip(NEXT) | instid1(VALU_DEP_2)
	v_cmp_ne_u32_e32 vcc_lo, 0, v3
	v_cmp_ne_u32_e64 s1, 0, v5
	s_delay_alu instid0(VALU_DEP_4) | instskip(NEXT) | instid1(VALU_DEP_1)
	v_dual_cndmask_b32 v3, v15, v13, vcc_lo :: v_dual_cndmask_b32 v5, v14, v12, vcc_lo
	v_dual_cndmask_b32 v3, v9, v3, s1 :: v_dual_cndmask_b32 v5, v8, v5, s1
	s_delay_alu instid0(VALU_DEP_1) | instskip(NEXT) | instid1(VALU_DEP_2)
	v_xor_b32_e32 v9, v3, v6
	v_xor_b32_e32 v8, v5, v6
	s_delay_alu instid0(VALU_DEP_1)
	v_sub_nc_u64_e32 v[6:7], v[8:9], v[6:7]
.LBB22_10:                              ;   in Loop: Header=BB22_4 Depth=1
	s_and_not1_saveexec_b32 s1, s37
	s_cbranch_execz .LBB22_12
; %bb.11:                               ;   in Loop: Header=BB22_4 Depth=1
	v_cvt_f32_u32_e32 v3, s24
	s_sub_co_i32 s2, 0, s24
	s_delay_alu instid0(VALU_DEP_1) | instskip(SKIP_1) | instid1(TRANS32_DEP_1)
	v_rcp_iflag_f32_e32 v3, v3
	v_nop
	v_mul_f32_e32 v3, 0x4f7ffffe, v3
	s_delay_alu instid0(VALU_DEP_1) | instskip(NEXT) | instid1(VALU_DEP_1)
	v_cvt_u32_f32_e32 v3, v3
	v_mul_lo_u32 v5, s2, v3
	s_delay_alu instid0(VALU_DEP_1) | instskip(NEXT) | instid1(VALU_DEP_1)
	v_mul_hi_u32 v5, v3, v5
	v_add_nc_u32_e32 v3, v3, v5
	s_delay_alu instid0(VALU_DEP_1) | instskip(NEXT) | instid1(VALU_DEP_1)
	v_mul_hi_u32 v3, v4, v3
	v_mul_lo_u32 v5, v3, s24
	s_delay_alu instid0(VALU_DEP_1) | instskip(NEXT) | instid1(VALU_DEP_1)
	v_dual_add_nc_u32 v6, 1, v3 :: v_dual_sub_nc_u32 v5, v4, v5
	v_subrev_nc_u32_e32 v7, s24, v5
	v_cmp_le_u32_e32 vcc_lo, s24, v5
	s_delay_alu instid0(VALU_DEP_2) | instskip(NEXT) | instid1(VALU_DEP_4)
	v_dual_cndmask_b32 v5, v5, v7, vcc_lo :: v_dual_mov_b32 v7, v2
	v_cndmask_b32_e32 v3, v3, v6, vcc_lo
	s_delay_alu instid0(VALU_DEP_2) | instskip(NEXT) | instid1(VALU_DEP_2)
	v_cmp_le_u32_e32 vcc_lo, s24, v5
	v_add_nc_u32_e32 v6, 1, v3
	s_delay_alu instid0(VALU_DEP_1)
	v_cndmask_b32_e32 v6, v3, v6, vcc_lo
.LBB22_12:                              ;   in Loop: Header=BB22_4 Depth=1
	s_or_b32 exec_lo, exec_lo, s1
	s_delay_alu instid0(VALU_DEP_1) | instskip(SKIP_1) | instid1(VALU_DEP_1)
	v_or_b32_e32 v3, s11, v7
                                        ; implicit-def: $vgpr8_vgpr9
	s_mov_b32 s1, exec_lo
	v_cmpx_ne_u64_e32 0, v[2:3]
	s_xor_b32 s37, exec_lo, s1
	s_cbranch_execz .LBB22_14
; %bb.13:                               ;   in Loop: Header=BB22_4 Depth=1
	s_ashr_i32 s40, s11, 31
	v_dual_mov_b32 v15, v2 :: v_dual_ashrrev_i32 v8, 31, v7
	s_mov_b32 s41, s40
	v_mov_b32_e32 v19, v2
	s_add_nc_u64 s[42:43], s[10:11], s[40:41]
	s_delay_alu instid0(VALU_DEP_2)
	v_mov_b32_e32 v9, v8
	s_xor_b64 s[42:43], s[42:43], s[40:41]
	v_mov_b32_e32 v23, v2
	s_cvt_f32_u32 s1, s42
	s_cvt_f32_u32 s2, s43
	s_sub_nc_u64 s[54:55], 0, s[42:43]
	v_add_nc_u64_e32 v[12:13], v[6:7], v[8:9]
	s_delay_alu instid0(SALU_CYCLE_1) | instskip(NEXT) | instid1(SALU_CYCLE_3)
	s_fmamk_f32 s1, s2, 0x4f800000, s1
	v_s_rcp_f32 s1, s1
	s_delay_alu instid0(VALU_DEP_1) | instskip(NEXT) | instid1(VALU_DEP_2)
	v_xor_b32_e32 v14, v12, v8
	v_xor_b32_e32 v18, v13, v8
	s_delay_alu instid0(TRANS32_DEP_1) | instskip(NEXT) | instid1(SALU_CYCLE_3)
	s_mul_f32 s1, s1, 0x5f7ffffc
	s_mul_f32 s2, s1, 0x2f800000
	s_delay_alu instid0(SALU_CYCLE_3) | instskip(NEXT) | instid1(SALU_CYCLE_3)
	s_trunc_f32 s2, s2
	s_fmamk_f32 s1, s2, 0xcf800000, s1
	s_cvt_u32_f32 s53, s2
	s_delay_alu instid0(SALU_CYCLE_2) | instskip(NEXT) | instid1(SALU_CYCLE_3)
	s_cvt_u32_f32 s52, s1
	s_mul_u64 s[56:57], s[54:55], s[52:53]
	s_delay_alu instid0(SALU_CYCLE_1)
	s_mul_hi_u32 s59, s52, s57
	s_mul_i32 s58, s52, s57
	s_mul_hi_u32 s2, s52, s56
	s_mul_i32 s41, s53, s56
	s_add_nc_u64 s[58:59], s[2:3], s[58:59]
	s_mul_hi_u32 s1, s53, s56
	s_mul_hi_u32 s60, s53, s57
	s_add_co_u32 s2, s58, s41
	s_add_co_ci_u32 s2, s59, s1
	s_mul_i32 s56, s53, s57
	s_add_co_ci_u32 s57, s60, 0
	s_delay_alu instid0(SALU_CYCLE_1) | instskip(NEXT) | instid1(SALU_CYCLE_1)
	s_add_nc_u64 s[56:57], s[2:3], s[56:57]
	s_add_co_u32 s52, s52, s56
	s_cselect_b32 s1, -1, 0
	s_delay_alu instid0(SALU_CYCLE_1) | instskip(SKIP_1) | instid1(SALU_CYCLE_1)
	s_cmp_lg_u32 s1, 0
	s_add_co_ci_u32 s53, s53, s57
	s_mul_u64 s[54:55], s[54:55], s[52:53]
	s_delay_alu instid0(SALU_CYCLE_1)
	s_mul_hi_u32 s57, s52, s55
	s_mul_i32 s56, s52, s55
	s_mul_hi_u32 s2, s52, s54
	s_mul_i32 s41, s53, s54
	s_add_nc_u64 s[56:57], s[2:3], s[56:57]
	s_mul_hi_u32 s1, s53, s54
	s_mul_hi_u32 s58, s53, s55
	s_add_co_u32 s2, s56, s41
	s_add_co_ci_u32 s2, s57, s1
	s_mul_i32 s54, s53, s55
	s_add_co_ci_u32 s55, s58, 0
	s_delay_alu instid0(SALU_CYCLE_1) | instskip(NEXT) | instid1(SALU_CYCLE_1)
	s_add_nc_u64 s[54:55], s[2:3], s[54:55]
	s_add_co_u32 s52, s52, s54
	s_cselect_b32 s1, -1, 0
	v_mul_hi_u32 v22, v14, s52
	s_cmp_lg_u32 s1, 0
	s_add_co_ci_u32 s2, s53, s55
	s_and_b64 s[54:55], s[52:53], s[34:35]
	v_mul_u64_e32 v[16:17], s[2:3], v[14:15]
	v_mul_u64_e32 v[12:13], s[54:55], v[18:19]
	;; [unrolled: 1-line block ×3, first 2 shown]
	s_delay_alu instid0(VALU_DEP_3) | instskip(NEXT) | instid1(VALU_DEP_1)
	v_add_nc_u64_e32 v[16:17], v[22:23], v[16:17]
	v_add_co_u32 v3, vcc_lo, v16, v12
	s_delay_alu instid0(VALU_DEP_2) | instskip(NEXT) | instid1(VALU_DEP_4)
	v_add_co_ci_u32_e32 v22, vcc_lo, v17, v13, vcc_lo
	v_add_co_ci_u32_e32 v21, vcc_lo, 0, v21, vcc_lo
	s_delay_alu instid0(VALU_DEP_1) | instskip(NEXT) | instid1(VALU_DEP_1)
	v_add_nc_u64_e32 v[12:13], v[22:23], v[20:21]
	v_mul_u64_e32 v[16:17], s[42:43], v[12:13]
	s_delay_alu instid0(VALU_DEP_1) | instskip(SKIP_1) | instid1(VALU_DEP_3)
	v_sub_co_u32 v5, vcc_lo, v14, v16
	v_add_nc_u64_e32 v[14:15], 2, v[12:13]
	v_sub_nc_u32_e32 v3, v18, v17
	v_sub_co_ci_u32_e64 v9, null, v18, v17, vcc_lo
	s_delay_alu instid0(VALU_DEP_4) | instskip(NEXT) | instid1(VALU_DEP_3)
	v_sub_co_u32 v7, s1, v5, s42
	v_subrev_co_ci_u32_e64 v3, null, s43, v3, vcc_lo
	v_add_nc_u64_e32 v[16:17], 1, v[12:13]
	s_delay_alu instid0(VALU_DEP_3) | instskip(NEXT) | instid1(VALU_DEP_3)
	v_cmp_le_u32_e32 vcc_lo, s42, v7
	v_subrev_co_ci_u32_e64 v3, null, 0, v3, s1
	v_cndmask_b32_e64 v7, 0, -1, vcc_lo
	s_delay_alu instid0(VALU_DEP_2)
	v_cmp_le_u32_e32 vcc_lo, s43, v3
	v_cndmask_b32_e64 v11, 0, -1, vcc_lo
	v_cmp_le_u32_e32 vcc_lo, s42, v5
	v_cndmask_b32_e64 v5, 0, -1, vcc_lo
	v_cmp_le_u32_e32 vcc_lo, s43, v9
	v_cndmask_b32_e64 v18, 0, -1, vcc_lo
	v_cmp_eq_u32_e32 vcc_lo, s43, v3
	v_cndmask_b32_e32 v3, v11, v7, vcc_lo
	v_cmp_eq_u32_e32 vcc_lo, s43, v9
	s_delay_alu instid0(VALU_DEP_4) | instskip(NEXT) | instid1(VALU_DEP_3)
	v_cndmask_b32_e32 v5, v18, v5, vcc_lo
	v_cmp_ne_u32_e32 vcc_lo, 0, v3
	v_cndmask_b32_e32 v3, v17, v15, vcc_lo
	s_delay_alu instid0(VALU_DEP_3) | instskip(SKIP_1) | instid1(VALU_DEP_1)
	v_cmp_ne_u32_e64 s1, 0, v5
	v_dual_cndmask_b32 v5, v16, v14, vcc_lo :: v_dual_bitop2_b32 v8, s40, v8 bitop3:0x14
	v_dual_cndmask_b32 v3, v13, v3, s1 :: v_dual_cndmask_b32 v5, v12, v5, s1
	s_delay_alu instid0(VALU_DEP_1) | instskip(NEXT) | instid1(VALU_DEP_2)
	v_dual_mov_b32 v9, v8 :: v_dual_bitop2_b32 v13, v3, v8 bitop3:0x14
	v_xor_b32_e32 v12, v5, v8
	s_delay_alu instid0(VALU_DEP_1)
	v_sub_nc_u64_e32 v[8:9], v[12:13], v[8:9]
.LBB22_14:                              ;   in Loop: Header=BB22_4 Depth=1
	s_and_not1_saveexec_b32 s1, s37
	s_cbranch_execz .LBB22_16
; %bb.15:                               ;   in Loop: Header=BB22_4 Depth=1
	v_cvt_f32_u32_e32 v3, s10
	s_sub_co_i32 s2, 0, s10
	s_delay_alu instid0(VALU_DEP_1) | instskip(SKIP_1) | instid1(TRANS32_DEP_1)
	v_rcp_iflag_f32_e32 v3, v3
	v_nop
	v_mul_f32_e32 v3, 0x4f7ffffe, v3
	s_delay_alu instid0(VALU_DEP_1) | instskip(NEXT) | instid1(VALU_DEP_1)
	v_cvt_u32_f32_e32 v3, v3
	v_mul_lo_u32 v5, s2, v3
	s_delay_alu instid0(VALU_DEP_1) | instskip(NEXT) | instid1(VALU_DEP_1)
	v_mul_hi_u32 v5, v3, v5
	v_add_nc_u32_e32 v3, v3, v5
	s_delay_alu instid0(VALU_DEP_1) | instskip(NEXT) | instid1(VALU_DEP_1)
	v_mul_hi_u32 v3, v6, v3
	v_mul_lo_u32 v5, v3, s10
	s_delay_alu instid0(VALU_DEP_1) | instskip(NEXT) | instid1(VALU_DEP_1)
	v_sub_nc_u32_e32 v5, v6, v5
	v_subrev_nc_u32_e32 v8, s10, v5
	v_cmp_le_u32_e32 vcc_lo, s10, v5
	s_delay_alu instid0(VALU_DEP_2) | instskip(NEXT) | instid1(VALU_DEP_1)
	v_dual_add_nc_u32 v7, 1, v3 :: v_dual_cndmask_b32 v5, v5, v8, vcc_lo
	v_cndmask_b32_e32 v3, v3, v7, vcc_lo
	s_delay_alu instid0(VALU_DEP_2) | instskip(NEXT) | instid1(VALU_DEP_2)
	v_cmp_le_u32_e32 vcc_lo, s10, v5
	v_add_nc_u32_e32 v7, 1, v3
	s_delay_alu instid0(VALU_DEP_1)
	v_cndmask_b32_e32 v8, v3, v7, vcc_lo
.LBB22_16:                              ;   in Loop: Header=BB22_4 Depth=1
	s_or_b32 exec_lo, exec_lo, s1
	s_delay_alu instid0(VALU_DEP_1) | instskip(SKIP_2) | instid1(VALU_DEP_2)
	v_mul_lo_u32 v3, v8, s10
	v_mov_b32_e32 v11, 0
	s_mov_b32 s1, exec_lo
	v_dual_mov_b32 v7, 0 :: v_dual_sub_nc_u32 v3, v6, v3
	s_delay_alu instid0(VALU_DEP_1)
	v_cmpx_le_i32_e64 s14, v3
	s_cbranch_execz .LBB22_18
; %bb.17:                               ;   in Loop: Header=BB22_4 Depth=1
	v_subrev_nc_u32_e32 v12, s14, v3
	v_mov_b32_e32 v13, v2
	s_delay_alu instid0(VALU_DEP_1) | instskip(NEXT) | instid1(VALU_DEP_1)
	v_mul_u64_e32 v[14:15], s[28:29], v[12:13]
	v_mul_lo_u32 v5, v15, s33
	s_delay_alu instid0(VALU_DEP_1) | instskip(NEXT) | instid1(VALU_DEP_1)
	v_dual_add_nc_u32 v9, 1, v15 :: v_dual_sub_nc_u32 v5, v12, v5
	v_subrev_nc_u32_e32 v11, s33, v5
	v_cmp_le_u32_e32 vcc_lo, s33, v5
	s_delay_alu instid0(VALU_DEP_2) | instskip(NEXT) | instid1(VALU_DEP_1)
	v_dual_cndmask_b32 v9, v15, v9, vcc_lo :: v_dual_cndmask_b32 v5, v5, v11, vcc_lo
	v_add_nc_u32_e32 v11, 1, v9
	s_delay_alu instid0(VALU_DEP_2) | instskip(NEXT) | instid1(VALU_DEP_2)
	v_cmp_le_u32_e32 vcc_lo, s33, v5
	v_cndmask_b32_e32 v5, v9, v11, vcc_lo
	s_delay_alu instid0(VALU_DEP_1) | instskip(NEXT) | instid1(VALU_DEP_1)
	v_xor_b32_e32 v5, s47, v5
	v_subrev_nc_u32_e32 v5, s47, v5
	s_delay_alu instid0(VALU_DEP_1)
	v_add_nc_u32_e32 v11, 1, v5
.LBB22_18:                              ;   in Loop: Header=BB22_4 Depth=1
	s_or_b32 exec_lo, exec_lo, s1
	v_mul_lo_u32 v5, v6, s24
	s_mov_b32 s1, exec_lo
	s_delay_alu instid0(VALU_DEP_1) | instskip(NEXT) | instid1(VALU_DEP_1)
	v_sub_nc_u32_e32 v5, v4, v5
	v_cmpx_le_i32_e64 s15, v5
	s_cbranch_execz .LBB22_20
; %bb.19:                               ;   in Loop: Header=BB22_4 Depth=1
	v_subrev_nc_u32_e32 v6, s15, v5
	v_mov_b32_e32 v7, v2
	s_delay_alu instid0(VALU_DEP_1) | instskip(NEXT) | instid1(VALU_DEP_1)
	v_mul_u64_e32 v[12:13], s[30:31], v[6:7]
	v_mul_lo_u32 v7, v13, s44
	s_delay_alu instid0(VALU_DEP_1) | instskip(NEXT) | instid1(VALU_DEP_1)
	v_dual_sub_nc_u32 v6, v6, v7 :: v_dual_add_nc_u32 v7, 1, v13
	v_subrev_nc_u32_e32 v9, s44, v6
	v_cmp_le_u32_e32 vcc_lo, s44, v6
	s_delay_alu instid0(VALU_DEP_2) | instskip(NEXT) | instid1(VALU_DEP_1)
	v_dual_cndmask_b32 v7, v13, v7 :: v_dual_cndmask_b32 v6, v6, v9
	v_add_nc_u32_e32 v9, 1, v7
	s_delay_alu instid0(VALU_DEP_2) | instskip(NEXT) | instid1(VALU_DEP_2)
	v_cmp_le_u32_e32 vcc_lo, s44, v6
	v_cndmask_b32_e32 v6, v7, v9, vcc_lo
	s_delay_alu instid0(VALU_DEP_1) | instskip(NEXT) | instid1(VALU_DEP_1)
	v_xor_b32_e32 v6, s48, v6
	v_subrev_nc_u32_e32 v6, s48, v6
	s_delay_alu instid0(VALU_DEP_1)
	v_add_nc_u32_e32 v7, 1, v6
.LBB22_20:                              ;   in Loop: Header=BB22_4 Depth=1
	s_or_b32 exec_lo, exec_lo, s1
	v_dual_mov_b32 v13, v2 :: v_dual_sub_nc_u32 v6, 0, v3
	s_mov_b32 s37, exec_lo
	s_delay_alu instid0(VALU_DEP_1) | instskip(NEXT) | instid1(VALU_DEP_1)
	v_max_i32_e32 v12, v3, v6
	v_mul_u64_e32 v[14:15], s[28:29], v[12:13]
	s_delay_alu instid0(VALU_DEP_1) | instskip(NEXT) | instid1(VALU_DEP_1)
	v_mul_lo_u32 v6, v15, s33
	v_dual_add_nc_u32 v9, 1, v15 :: v_dual_sub_nc_u32 v6, v12, v6
	s_delay_alu instid0(VALU_DEP_1) | instskip(NEXT) | instid1(VALU_DEP_2)
	v_cmp_le_u32_e32 vcc_lo, s33, v6
	v_cndmask_b32_e32 v9, v15, v9, vcc_lo
	v_subrev_nc_u32_e32 v12, s33, v6
	s_delay_alu instid0(VALU_DEP_1) | instskip(NEXT) | instid1(VALU_DEP_1)
	v_dual_cndmask_b32 v6, v6, v12 :: v_dual_ashrrev_i32 v3, 31, v3
	v_dual_add_nc_u32 v12, 1, v9 :: v_dual_bitop2_b32 v3, s47, v3 bitop3:0x14
	s_delay_alu instid0(VALU_DEP_2) | instskip(NEXT) | instid1(VALU_DEP_2)
	v_cmp_le_u32_e32 vcc_lo, s33, v6
	v_cndmask_b32_e32 v6, v9, v12, vcc_lo
	s_delay_alu instid0(VALU_DEP_1) | instskip(NEXT) | instid1(VALU_DEP_1)
	v_xor_b32_e32 v6, v6, v3
	v_sub_nc_u32_e32 v3, v6, v3
	s_delay_alu instid0(VALU_DEP_1) | instskip(SKIP_1) | instid1(VALU_DEP_2)
	v_add_min_i32_e64 v6, v3, 1, s12
	v_mov_b32_e32 v3, 0
	v_cmpx_lt_i32_e64 v11, v6
	s_cbranch_execz .LBB22_3
; %bb.21:                               ;   in Loop: Header=BB22_4 Depth=1
	v_dual_sub_nc_u32 v3, 0, v5 :: v_dual_mov_b32 v13, v2
	v_mul_lo_u32 v4, v4, s8
	s_mov_b32 s40, 0
	s_delay_alu instid0(VALU_DEP_2) | instskip(SKIP_1) | instid1(VALU_DEP_2)
	v_dual_ashrrev_i32 v9, 31, v8 :: v_dual_max_i32 v12, v5, v3
	v_ashrrev_i32_e32 v5, 31, v5
	v_mul_u64_e32 v[16:17], s[38:39], v[8:9]
	s_delay_alu instid0(VALU_DEP_3) | instskip(SKIP_1) | instid1(VALU_DEP_1)
	v_mul_u64_e32 v[14:15], s[30:31], v[12:13]
	v_mul_lo_u32 v14, s17, v7
	v_dual_add_nc_u32 v13, s50, v14 :: v_dual_bitop2_b32 v5, s48, v5 bitop3:0x14
	s_delay_alu instid0(VALU_DEP_4) | instskip(NEXT) | instid1(VALU_DEP_4)
	v_lshl_add_u64 v[16:17], v[16:17], 1, s[6:7]
	v_mul_lo_u32 v3, v15, s44
	v_add_nc_u32_e32 v8, 1, v15
	s_delay_alu instid0(VALU_DEP_2) | instskip(SKIP_1) | instid1(VALU_DEP_2)
	v_dual_sub_nc_u32 v3, v12, v3 :: v_dual_add_nc_u32 v12, s49, v14
	v_sub_nc_u32_e32 v14, s19, v14
	v_cmp_le_u32_e32 vcc_lo, s44, v3
	s_delay_alu instid0(VALU_DEP_4) | instskip(SKIP_1) | instid1(VALU_DEP_1)
	v_cndmask_b32_e32 v8, v15, v8, vcc_lo
	v_subrev_nc_u32_e32 v9, s44, v3
	v_dual_cndmask_b32 v3, v3, v9, vcc_lo :: v_dual_add_nc_u32 v9, 1, v8
	s_delay_alu instid0(VALU_DEP_1) | instskip(NEXT) | instid1(VALU_DEP_2)
	v_cmp_le_u32_e32 vcc_lo, s44, v3
	v_cndmask_b32_e32 v3, v8, v9, vcc_lo
	s_delay_alu instid0(VALU_DEP_1) | instskip(NEXT) | instid1(VALU_DEP_1)
	v_dual_sub_nc_u32 v3, v0, v4 :: v_dual_bitop2_b32 v8, v3, v5 bitop3:0x14
	v_sub_nc_u32_e32 v9, v8, v5
	s_delay_alu instid0(VALU_DEP_2) | instskip(SKIP_2) | instid1(VALU_DEP_4)
	v_ashrrev_i64 v[4:5], 31, v[2:3]
	v_mul_lo_u32 v8, s13, v11
	v_mov_b32_e32 v3, 0
	v_add_min_i32_e64 v9, v9, 1, s13
	s_delay_alu instid0(VALU_DEP_4) | instskip(NEXT) | instid1(VALU_DEP_2)
	v_add_nc_u64_e32 v[4:5], v[16:17], v[4:5]
	v_cmp_lt_i32_e64 s1, v7, v9
	s_branch .LBB22_24
.LBB22_22:                              ;   in Loop: Header=BB22_24 Depth=2
	s_or_b32 exec_lo, exec_lo, s42
.LBB22_23:                              ;   in Loop: Header=BB22_24 Depth=2
	s_delay_alu instid0(SALU_CYCLE_1) | instskip(SKIP_1) | instid1(VALU_DEP_1)
	s_or_b32 exec_lo, exec_lo, s41
	v_dual_add_nc_u32 v11, 1, v11 :: v_dual_add_nc_u32 v8, s13, v8
	v_cmp_ge_i32_e32 vcc_lo, v11, v6
	s_or_b32 s40, vcc_lo, s40
	s_delay_alu instid0(SALU_CYCLE_1)
	s_and_not1_b32 exec_lo, exec_lo, s40
	s_cbranch_execz .LBB22_2
.LBB22_24:                              ;   Parent Loop BB22_4 Depth=1
                                        ; =>  This Loop Header: Depth=2
                                        ;       Child Loop BB22_27 Depth 3
	s_delay_alu instid0(VALU_DEP_1)
	s_and_saveexec_b32 s41, s1
	s_cbranch_execz .LBB22_23
; %bb.25:                               ;   in Loop: Header=BB22_24 Depth=2
	v_mul_lo_u32 v15, v11, s16
	s_mov_b32 s42, 0
	v_mov_b32_e32 v16, v13
	s_delay_alu instid0(VALU_DEP_2) | instskip(NEXT) | instid1(VALU_DEP_1)
	v_subrev_nc_u32_e32 v18, s18, v15
	v_dual_mov_b32 v15, v14 :: v_dual_max_i32 v20, 0, v18
	v_add_min_i32_e64 v19, v18, s14, s45
	s_delay_alu instid0(VALU_DEP_1) | instskip(SKIP_1) | instid1(VALU_DEP_1)
	v_dual_mov_b32 v17, v12 :: v_dual_sub_nc_u32 v18, v19, v18
	v_min_i32_e32 v21, s10, v19
	v_cmp_gt_i32_e64 s2, v21, v20
	v_dual_mov_b32 v20, v7 :: v_dual_sub_nc_u32 v19, v21, v20
	s_branch .LBB22_27
.LBB22_26:                              ;   in Loop: Header=BB22_27 Depth=3
	s_or_b32 exec_lo, exec_lo, s43
	v_dual_add_nc_u32 v20, 1, v20 :: v_dual_add_nc_u32 v17, s17, v17
	v_add_nc_u32_e32 v16, s17, v16
	v_subrev_nc_u32_e32 v15, s17, v15
	s_delay_alu instid0(VALU_DEP_3) | instskip(SKIP_1) | instid1(SALU_CYCLE_1)
	v_cmp_ge_i32_e32 vcc_lo, v20, v9
	s_or_b32 s42, vcc_lo, s42
	s_and_not1_b32 exec_lo, exec_lo, s42
	s_cbranch_execz .LBB22_22
.LBB22_27:                              ;   Parent Loop BB22_4 Depth=1
                                        ;     Parent Loop BB22_24 Depth=2
                                        ; =>    This Inner Loop Header: Depth=3
	v_dual_add_nc_u32 v22, s15, v17 :: v_dual_max_i32 v21, 0, v17
	s_delay_alu instid0(VALU_DEP_1) | instskip(NEXT) | instid1(VALU_DEP_1)
	v_min3_i32 v22, v22, s46, s24
	v_cmp_gt_i32_e32 vcc_lo, v22, v21
	s_and_b32 s52, s2, vcc_lo
	s_delay_alu instid0(SALU_CYCLE_1)
	s_and_saveexec_b32 s43, s52
	s_cbranch_execz .LBB22_26
; %bb.28:                               ;   in Loop: Header=BB22_27 Depth=3
	v_dual_add_nc_u32 v24, v8, v20 :: v_dual_sub_nc_u32 v21, v22, v21
	s_delay_alu instid0(VALU_DEP_1) | instskip(NEXT) | instid1(VALU_DEP_2)
	v_ashrrev_i32_e32 v25, 31, v24
	v_mul_lo_u32 v21, v21, v19
	s_delay_alu instid0(VALU_DEP_2) | instskip(NEXT) | instid1(VALU_DEP_1)
	v_mul_u64_e32 v[24:25], s[8:9], v[24:25]
	v_lshl_add_u64 v[24:25], v[24:25], 1, v[4:5]
	global_load_u16 v23, v[24:25], off
	s_wait_xcnt 0x0
	v_min_i32_e32 v24, s46, v16
	s_delay_alu instid0(VALU_DEP_1) | instskip(NEXT) | instid1(VALU_DEP_1)
	v_add_nc_u32_e32 v22, v24, v15
	v_mul_lo_u32 v22, v22, v18
	s_delay_alu instid0(VALU_DEP_1) | instskip(NEXT) | instid1(VALU_DEP_1)
	v_cndmask_b32_e64 v21, v21, v22, s0
	v_cndmask_b32_e64 v21, v21, s22, s23
	s_delay_alu instid0(VALU_DEP_1) | instskip(NEXT) | instid1(VALU_DEP_1)
	v_cvt_f32_i32_e32 v21, v21
	v_bfe_u32 v22, v21, 16, 1
	s_delay_alu instid0(VALU_DEP_1) | instskip(NEXT) | instid1(VALU_DEP_1)
	v_add3_u32 v21, v21, v22, 0x7fff
	v_and_b32_e32 v21, 0xffff0000, v21
	s_wait_loadcnt 0x0
	v_lshlrev_b32_e32 v22, 16, v23
	s_delay_alu instid0(VALU_DEP_1) | instskip(NEXT) | instid1(VALU_DEP_1)
	v_div_scale_f32 v23, null, v21, v21, v22
	v_rcp_f32_e32 v24, v23
	v_nop
	s_delay_alu instid0(TRANS32_DEP_1) | instskip(NEXT) | instid1(VALU_DEP_1)
	v_fma_f32 v25, -v23, v24, 1.0
	v_fmac_f32_e32 v24, v25, v24
	v_div_scale_f32 v25, vcc_lo, v22, v21, v22
	s_delay_alu instid0(VALU_DEP_1) | instskip(NEXT) | instid1(VALU_DEP_1)
	v_mul_f32_e32 v26, v25, v24
	v_fma_f32 v27, -v23, v26, v25
	s_delay_alu instid0(VALU_DEP_1) | instskip(NEXT) | instid1(VALU_DEP_1)
	v_fmac_f32_e32 v26, v27, v24
	v_fma_f32 v23, -v23, v26, v25
	s_delay_alu instid0(VALU_DEP_1) | instskip(NEXT) | instid1(VALU_DEP_1)
	v_div_fmas_f32 v23, v23, v24, v26
	v_div_fixup_f32 v21, v23, v21, v22
	s_delay_alu instid0(VALU_DEP_1) | instskip(SKIP_1) | instid1(VALU_DEP_2)
	v_bfe_u32 v22, v21, 16, 1
	v_cmp_o_f32_e32 vcc_lo, v21, v21
	v_add3_u32 v22, v21, v22, 0x7fff
	s_delay_alu instid0(VALU_DEP_1) | instskip(NEXT) | instid1(VALU_DEP_1)
	v_and_b32_e32 v22, 0xffff0000, v22
	v_cndmask_b32_e32 v21, 0x7fc00000, v22, vcc_lo
	s_delay_alu instid0(VALU_DEP_1)
	v_add_f32_e32 v3, v3, v21
	s_branch .LBB22_26
.LBB22_29:
	s_endpgm
	.section	.rodata,"a",@progbits
	.p2align	6, 0x0
	.amdhsa_kernel _ZN2at6native12_GLOBAL__N_139avg_pool2d_backward_out_cuda_frame_nhwcIN3c108BFloat16EflEEvT1_PKT_llliiiiiiiiPS6_ibb
		.amdhsa_group_segment_fixed_size 0
		.amdhsa_private_segment_fixed_size 0
		.amdhsa_kernarg_size 344
		.amdhsa_user_sgpr_count 2
		.amdhsa_user_sgpr_dispatch_ptr 0
		.amdhsa_user_sgpr_queue_ptr 0
		.amdhsa_user_sgpr_kernarg_segment_ptr 1
		.amdhsa_user_sgpr_dispatch_id 0
		.amdhsa_user_sgpr_kernarg_preload_length 0
		.amdhsa_user_sgpr_kernarg_preload_offset 0
		.amdhsa_user_sgpr_private_segment_size 0
		.amdhsa_wavefront_size32 1
		.amdhsa_uses_dynamic_stack 0
		.amdhsa_enable_private_segment 0
		.amdhsa_system_sgpr_workgroup_id_x 1
		.amdhsa_system_sgpr_workgroup_id_y 0
		.amdhsa_system_sgpr_workgroup_id_z 0
		.amdhsa_system_sgpr_workgroup_info 0
		.amdhsa_system_vgpr_workitem_id 0
		.amdhsa_next_free_vgpr 28
		.amdhsa_next_free_sgpr 61
		.amdhsa_named_barrier_count 0
		.amdhsa_reserve_vcc 1
		.amdhsa_float_round_mode_32 0
		.amdhsa_float_round_mode_16_64 0
		.amdhsa_float_denorm_mode_32 3
		.amdhsa_float_denorm_mode_16_64 3
		.amdhsa_fp16_overflow 0
		.amdhsa_memory_ordered 1
		.amdhsa_forward_progress 1
		.amdhsa_inst_pref_size 31
		.amdhsa_round_robin_scheduling 0
		.amdhsa_exception_fp_ieee_invalid_op 0
		.amdhsa_exception_fp_denorm_src 0
		.amdhsa_exception_fp_ieee_div_zero 0
		.amdhsa_exception_fp_ieee_overflow 0
		.amdhsa_exception_fp_ieee_underflow 0
		.amdhsa_exception_fp_ieee_inexact 0
		.amdhsa_exception_int_div_zero 0
	.end_amdhsa_kernel
	.section	.text._ZN2at6native12_GLOBAL__N_139avg_pool2d_backward_out_cuda_frame_nhwcIN3c108BFloat16EflEEvT1_PKT_llliiiiiiiiPS6_ibb,"axG",@progbits,_ZN2at6native12_GLOBAL__N_139avg_pool2d_backward_out_cuda_frame_nhwcIN3c108BFloat16EflEEvT1_PKT_llliiiiiiiiPS6_ibb,comdat
.Lfunc_end22:
	.size	_ZN2at6native12_GLOBAL__N_139avg_pool2d_backward_out_cuda_frame_nhwcIN3c108BFloat16EflEEvT1_PKT_llliiiiiiiiPS6_ibb, .Lfunc_end22-_ZN2at6native12_GLOBAL__N_139avg_pool2d_backward_out_cuda_frame_nhwcIN3c108BFloat16EflEEvT1_PKT_llliiiiiiiiPS6_ibb
                                        ; -- End function
	.set _ZN2at6native12_GLOBAL__N_139avg_pool2d_backward_out_cuda_frame_nhwcIN3c108BFloat16EflEEvT1_PKT_llliiiiiiiiPS6_ibb.num_vgpr, 28
	.set _ZN2at6native12_GLOBAL__N_139avg_pool2d_backward_out_cuda_frame_nhwcIN3c108BFloat16EflEEvT1_PKT_llliiiiiiiiPS6_ibb.num_agpr, 0
	.set _ZN2at6native12_GLOBAL__N_139avg_pool2d_backward_out_cuda_frame_nhwcIN3c108BFloat16EflEEvT1_PKT_llliiiiiiiiPS6_ibb.numbered_sgpr, 61
	.set _ZN2at6native12_GLOBAL__N_139avg_pool2d_backward_out_cuda_frame_nhwcIN3c108BFloat16EflEEvT1_PKT_llliiiiiiiiPS6_ibb.num_named_barrier, 0
	.set _ZN2at6native12_GLOBAL__N_139avg_pool2d_backward_out_cuda_frame_nhwcIN3c108BFloat16EflEEvT1_PKT_llliiiiiiiiPS6_ibb.private_seg_size, 0
	.set _ZN2at6native12_GLOBAL__N_139avg_pool2d_backward_out_cuda_frame_nhwcIN3c108BFloat16EflEEvT1_PKT_llliiiiiiiiPS6_ibb.uses_vcc, 1
	.set _ZN2at6native12_GLOBAL__N_139avg_pool2d_backward_out_cuda_frame_nhwcIN3c108BFloat16EflEEvT1_PKT_llliiiiiiiiPS6_ibb.uses_flat_scratch, 0
	.set _ZN2at6native12_GLOBAL__N_139avg_pool2d_backward_out_cuda_frame_nhwcIN3c108BFloat16EflEEvT1_PKT_llliiiiiiiiPS6_ibb.has_dyn_sized_stack, 0
	.set _ZN2at6native12_GLOBAL__N_139avg_pool2d_backward_out_cuda_frame_nhwcIN3c108BFloat16EflEEvT1_PKT_llliiiiiiiiPS6_ibb.has_recursion, 0
	.set _ZN2at6native12_GLOBAL__N_139avg_pool2d_backward_out_cuda_frame_nhwcIN3c108BFloat16EflEEvT1_PKT_llliiiiiiiiPS6_ibb.has_indirect_call, 0
	.section	.AMDGPU.csdata,"",@progbits
; Kernel info:
; codeLenInByte = 3856
; TotalNumSgprs: 63
; NumVgprs: 28
; ScratchSize: 0
; MemoryBound: 0
; FloatMode: 240
; IeeeMode: 1
; LDSByteSize: 0 bytes/workgroup (compile time only)
; SGPRBlocks: 0
; VGPRBlocks: 1
; NumSGPRsForWavesPerEU: 63
; NumVGPRsForWavesPerEU: 28
; NamedBarCnt: 0
; Occupancy: 16
; WaveLimiterHint : 0
; COMPUTE_PGM_RSRC2:SCRATCH_EN: 0
; COMPUTE_PGM_RSRC2:USER_SGPR: 2
; COMPUTE_PGM_RSRC2:TRAP_HANDLER: 0
; COMPUTE_PGM_RSRC2:TGID_X_EN: 1
; COMPUTE_PGM_RSRC2:TGID_Y_EN: 0
; COMPUTE_PGM_RSRC2:TGID_Z_EN: 0
; COMPUTE_PGM_RSRC2:TIDIG_COMP_CNT: 0
	.section	.text._ZN2at6native12_GLOBAL__N_134avg_pool2d_backward_out_cuda_frameIN3c108BFloat16EflEEvT1_PKT_llllliiiiiiPS6_ibb,"axG",@progbits,_ZN2at6native12_GLOBAL__N_134avg_pool2d_backward_out_cuda_frameIN3c108BFloat16EflEEvT1_PKT_llllliiiiiiPS6_ibb,comdat
	.globl	_ZN2at6native12_GLOBAL__N_134avg_pool2d_backward_out_cuda_frameIN3c108BFloat16EflEEvT1_PKT_llllliiiiiiPS6_ibb ; -- Begin function _ZN2at6native12_GLOBAL__N_134avg_pool2d_backward_out_cuda_frameIN3c108BFloat16EflEEvT1_PKT_llllliiiiiiPS6_ibb
	.p2align	8
	.type	_ZN2at6native12_GLOBAL__N_134avg_pool2d_backward_out_cuda_frameIN3c108BFloat16EflEEvT1_PKT_llllliiiiiiPS6_ibb,@function
_ZN2at6native12_GLOBAL__N_134avg_pool2d_backward_out_cuda_frameIN3c108BFloat16EflEEvT1_PKT_llllliiiiiiPS6_ibb: ; @_ZN2at6native12_GLOBAL__N_134avg_pool2d_backward_out_cuda_frameIN3c108BFloat16EflEEvT1_PKT_llllliiiiiiPS6_ibb
; %bb.0:
	s_load_b32 s2, s[0:1], 0x6c
	s_bfe_u32 s4, ttmp6, 0x4000c
	v_mov_b32_e32 v2, 0
	s_add_co_i32 s13, s4, 1
	s_load_b256 s[4:11], s[0:1], 0x0
	s_and_b32 s3, ttmp6, 15
	s_mul_i32 s13, ttmp9, s13
	s_getreg_b32 s12, hwreg(HW_REG_IB_STS2, 6, 4)
	v_mov_b32_e32 v1, v2
	s_add_co_i32 s3, s3, s13
	s_wait_kmcnt 0x0
	s_and_b32 s2, s2, 0xffff
	s_cmp_eq_u32 s12, 0
	s_mov_b32 s12, exec_lo
	s_cselect_b32 s3, ttmp9, s3
	s_delay_alu instid0(SALU_CYCLE_1) | instskip(SKIP_1) | instid1(VALU_DEP_1)
	v_mad_nc_u64_u32 v[0:1], s2, s3, v[0:1]
	s_mov_b32 s3, 0
	v_cmpx_gt_i64_e64 s[4:5], v[0:1]
	s_cbranch_execz .LBB23_29
; %bb.1:
	s_clause 0x1
	s_load_b64 s[28:29], s[0:1], 0x58
	s_load_b256 s[12:19], s[0:1], 0x20
	s_wait_kmcnt 0x0
	s_add_nc_u64 s[18:19], s[0:1], 0x60
	s_load_b32 s30, s[0:1], 0x5c
	s_load_b32 s33, s[18:19], 0x0
	s_load_b256 s[20:27], s[0:1], 0x38
	s_wait_xcnt 0x0
	s_mov_b32 s19, s3
	s_mov_b32 s31, s3
	;; [unrolled: 1-line block ×3, first 2 shown]
	s_mov_b64 s[36:37], 0xffffffff
	s_mov_b32 s54, 0
	s_bitcmp1_b32 s29, 0
	v_cvt_f32_u32_e32 v3, s12
	s_cselect_b32 s0, -1, 0
	s_wait_kmcnt 0x0
	s_bitcmp1_b32 s30, 8
	s_mul_i32 s18, s33, s2
	s_cselect_b32 s29, -1, 0
	s_abs_i32 s33, s22
	s_abs_i32 s48, s23
	s_cvt_f32_u32 s1, s33
	s_cvt_f32_u32 s2, s48
	v_rcp_iflag_f32_e32 v3, v3
	s_sub_co_i32 s30, 0, s33
	v_rcp_iflag_f32_e32 v4, s1
	v_rcp_iflag_f32_e32 v5, s2
	s_sub_co_i32 s34, 0, s48
	s_add_co_i32 s49, s24, s10
	s_add_co_i32 s50, s25, s12
	v_mul_f32_e32 v3, 0x4f7ffffe, v3
	s_ashr_i32 s51, s22, 31
	v_readfirstlane_b32 s1, v4
	v_readfirstlane_b32 s2, v5
	s_ashr_i32 s52, s23, 31
	v_cvt_u32_f32_e32 v14, v3
	s_lshl_b64 s[38:39], s[14:15], 1
	s_mul_f32 s1, s1, 0x4f7ffffe
	s_mul_f32 s2, s2, 0x4f7ffffe
	s_lshl_b64 s[40:41], s[16:17], 1
	s_sub_co_i32 s15, 0, s25
	s_cvt_u32_f32 s1, s1
	s_cvt_u32_f32 s2, s2
	s_sub_co_i32 s53, s21, s25
	s_ashr_i32 s42, s13, 31
	s_mul_i32 s30, s30, s1
	s_mul_i32 s34, s34, s2
	s_mul_hi_u32 s30, s1, s30
	s_mul_hi_u32 s34, s2, s34
	s_add_co_i32 s30, s1, s30
	s_add_co_i32 s34, s2, s34
	s_branch .LBB23_4
.LBB23_2:                               ;   in Loop: Header=BB23_4 Depth=1
	s_or_b32 exec_lo, exec_lo, s44
.LBB23_3:                               ;   in Loop: Header=BB23_4 Depth=1
	s_delay_alu instid0(SALU_CYCLE_1) | instskip(SKIP_4) | instid1(VALU_DEP_4)
	s_or_b32 exec_lo, exec_lo, s43
	v_bfe_u32 v3, v9, 16, 1
	v_lshl_add_u64 v[4:5], v[0:1], 1, s[26:27]
	v_add_nc_u64_e32 v[0:1], s[18:19], v[0:1]
	v_cmp_o_f32_e64 s1, v9, v9
	v_add3_u32 v3, v9, v3, 0x7fff
	s_delay_alu instid0(VALU_DEP_3) | instskip(NEXT) | instid1(VALU_DEP_2)
	v_cmp_le_i64_e32 vcc_lo, s[4:5], v[0:1]
	v_lshrrev_b32_e32 v3, 16, v3
	s_delay_alu instid0(VALU_DEP_1)
	v_cndmask_b32_e64 v3, 0x7fc0, v3, s1
	s_or_b32 s54, vcc_lo, s54
	global_store_b16 v[4:5], v3, off
	s_wait_xcnt 0x0
	s_and_not1_b32 exec_lo, exec_lo, s54
	s_cbranch_execz .LBB23_29
.LBB23_4:                               ; =>This Loop Header: Depth=1
                                        ;     Child Loop BB23_24 Depth 2
                                        ;       Child Loop BB23_27 Depth 3
	v_or_b32_e32 v3, s13, v1
                                        ; implicit-def: $vgpr4_vgpr5
	s_mov_b32 s1, exec_lo
	s_delay_alu instid0(VALU_DEP_1)
	v_cmpx_ne_u64_e32 0, v[2:3]
	s_xor_b32 s46, exec_lo, s1
	s_cbranch_execz .LBB23_6
; %bb.5:                                ;   in Loop: Header=BB23_4 Depth=1
	s_mov_b32 s43, s42
	v_dual_mov_b32 v9, v2 :: v_dual_ashrrev_i32 v4, 31, v1
	s_add_nc_u64 s[44:45], s[12:13], s[42:43]
	s_delay_alu instid0(SALU_CYCLE_1) | instskip(NEXT) | instid1(VALU_DEP_1)
	s_xor_b64 s[44:45], s[44:45], s[42:43]
	v_mov_b32_e32 v5, v4
	s_cvt_f32_u32 s1, s44
	s_cvt_f32_u32 s2, s45
	s_sub_nc_u64 s[58:59], 0, s[44:45]
	s_delay_alu instid0(VALU_DEP_1) | instskip(NEXT) | instid1(SALU_CYCLE_1)
	v_add_nc_u64_e32 v[6:7], v[0:1], v[4:5]
	s_fmamk_f32 s1, s2, 0x4f800000, s1
	v_mov_b32_e32 v13, v2
	s_delay_alu instid0(SALU_CYCLE_2) | instskip(NEXT) | instid1(VALU_DEP_2)
	v_s_rcp_f32 s1, s1
	v_xor_b32_e32 v8, v6, v4
	s_delay_alu instid0(VALU_DEP_3) | instskip(SKIP_1) | instid1(TRANS32_DEP_1)
	v_dual_mov_b32 v19, v2 :: v_dual_bitop2_b32 v12, v7, v4 bitop3:0x14
	v_xor_b32_e32 v4, s42, v4
	s_mul_f32 s1, s1, 0x5f7ffffc
	s_delay_alu instid0(SALU_CYCLE_3) | instskip(NEXT) | instid1(SALU_CYCLE_3)
	s_mul_f32 s2, s1, 0x2f800000
	s_trunc_f32 s2, s2
	s_delay_alu instid0(SALU_CYCLE_3) | instskip(SKIP_1) | instid1(SALU_CYCLE_2)
	s_fmamk_f32 s1, s2, 0xcf800000, s1
	s_cvt_u32_f32 s57, s2
	s_cvt_u32_f32 s56, s1
	s_delay_alu instid0(SALU_CYCLE_3) | instskip(NEXT) | instid1(SALU_CYCLE_1)
	s_mul_u64 s[60:61], s[58:59], s[56:57]
	s_mul_hi_u32 s63, s56, s61
	s_mul_i32 s62, s56, s61
	s_mul_hi_u32 s2, s56, s60
	s_mul_i32 s43, s57, s60
	s_add_nc_u64 s[62:63], s[2:3], s[62:63]
	s_mul_hi_u32 s1, s57, s60
	s_mul_hi_u32 s47, s57, s61
	s_add_co_u32 s2, s62, s43
	s_add_co_ci_u32 s2, s63, s1
	s_mul_i32 s60, s57, s61
	s_add_co_ci_u32 s61, s47, 0
	s_delay_alu instid0(SALU_CYCLE_1) | instskip(NEXT) | instid1(SALU_CYCLE_1)
	s_add_nc_u64 s[60:61], s[2:3], s[60:61]
	s_add_co_u32 s56, s56, s60
	s_cselect_b32 s1, -1, 0
	s_delay_alu instid0(SALU_CYCLE_1) | instskip(SKIP_1) | instid1(SALU_CYCLE_1)
	s_cmp_lg_u32 s1, 0
	s_add_co_ci_u32 s57, s57, s61
	s_mul_u64 s[58:59], s[58:59], s[56:57]
	s_delay_alu instid0(SALU_CYCLE_1)
	s_mul_hi_u32 s61, s56, s59
	s_mul_i32 s60, s56, s59
	s_mul_hi_u32 s2, s56, s58
	s_mul_i32 s43, s57, s58
	s_add_nc_u64 s[60:61], s[2:3], s[60:61]
	s_mul_hi_u32 s1, s57, s58
	s_mul_hi_u32 s47, s57, s59
	s_add_co_u32 s2, s60, s43
	s_add_co_ci_u32 s2, s61, s1
	s_mul_i32 s58, s57, s59
	s_add_co_ci_u32 s59, s47, 0
	s_delay_alu instid0(SALU_CYCLE_1) | instskip(NEXT) | instid1(SALU_CYCLE_1)
	s_add_nc_u64 s[58:59], s[2:3], s[58:59]
	s_add_co_u32 s56, s56, s58
	s_cselect_b32 s1, -1, 0
	v_mul_hi_u32 v18, v8, s56
	s_cmp_lg_u32 s1, 0
	s_add_co_ci_u32 s2, s57, s59
	s_and_b64 s[58:59], s[56:57], s[36:37]
	v_mul_u64_e32 v[10:11], s[2:3], v[8:9]
	v_mul_u64_e32 v[6:7], s[58:59], v[12:13]
	;; [unrolled: 1-line block ×3, first 2 shown]
	s_delay_alu instid0(VALU_DEP_3) | instskip(NEXT) | instid1(VALU_DEP_1)
	v_add_nc_u64_e32 v[10:11], v[18:19], v[10:11]
	v_add_co_u32 v3, vcc_lo, v10, v6
	s_delay_alu instid0(VALU_DEP_2) | instskip(NEXT) | instid1(VALU_DEP_4)
	v_add_co_ci_u32_e32 v18, vcc_lo, v11, v7, vcc_lo
	v_add_co_ci_u32_e32 v17, vcc_lo, 0, v17, vcc_lo
	s_delay_alu instid0(VALU_DEP_1) | instskip(NEXT) | instid1(VALU_DEP_1)
	v_add_nc_u64_e32 v[6:7], v[18:19], v[16:17]
	v_mul_u64_e32 v[10:11], s[44:45], v[6:7]
	s_delay_alu instid0(VALU_DEP_1) | instskip(NEXT) | instid1(VALU_DEP_2)
	v_sub_nc_u32_e32 v3, v12, v11
	v_sub_co_u32 v5, vcc_lo, v8, v10
	s_delay_alu instid0(VALU_DEP_1) | instskip(NEXT) | instid1(VALU_DEP_3)
	v_sub_co_ci_u32_e64 v12, null, v12, v11, vcc_lo
	v_subrev_co_ci_u32_e64 v3, null, s45, v3, vcc_lo
	s_delay_alu instid0(VALU_DEP_3) | instskip(SKIP_1) | instid1(VALU_DEP_3)
	v_sub_co_u32 v8, s1, v5, s44
	v_add_nc_u64_e32 v[10:11], 1, v[6:7]
	v_subrev_co_ci_u32_e64 v3, null, 0, v3, s1
	s_delay_alu instid0(VALU_DEP_3) | instskip(SKIP_1) | instid1(VALU_DEP_3)
	v_cmp_le_u32_e32 vcc_lo, s44, v8
	v_cndmask_b32_e64 v8, 0, -1, vcc_lo
	v_cmp_le_u32_e32 vcc_lo, s45, v3
	v_cndmask_b32_e64 v9, 0, -1, vcc_lo
	;; [unrolled: 2-line block ×4, first 2 shown]
	v_cmp_eq_u32_e32 vcc_lo, s45, v3
	v_cndmask_b32_e32 v3, v9, v8, vcc_lo
	v_cmp_eq_u32_e32 vcc_lo, s45, v12
	v_add_nc_u64_e32 v[8:9], 2, v[6:7]
	v_cndmask_b32_e32 v5, v13, v5, vcc_lo
	s_delay_alu instid0(VALU_DEP_4) | instskip(NEXT) | instid1(VALU_DEP_2)
	v_cmp_ne_u32_e32 vcc_lo, 0, v3
	v_cmp_ne_u32_e64 s1, 0, v5
	s_delay_alu instid0(VALU_DEP_4) | instskip(NEXT) | instid1(VALU_DEP_1)
	v_dual_cndmask_b32 v3, v11, v9, vcc_lo :: v_dual_cndmask_b32 v5, v10, v8, vcc_lo
	v_dual_cndmask_b32 v6, v6, v5, s1 :: v_dual_mov_b32 v5, v4
	s_delay_alu instid0(VALU_DEP_1) | instskip(NEXT) | instid1(VALU_DEP_1)
	v_dual_cndmask_b32 v3, v7, v3, s1 :: v_dual_bitop2_b32 v6, v6, v4 bitop3:0x14
	v_xor_b32_e32 v7, v3, v4
	s_delay_alu instid0(VALU_DEP_1)
	v_sub_nc_u64_e32 v[4:5], v[6:7], v[4:5]
.LBB23_6:                               ;   in Loop: Header=BB23_4 Depth=1
	s_and_not1_saveexec_b32 s1, s46
	s_cbranch_execz .LBB23_8
; %bb.7:                                ;   in Loop: Header=BB23_4 Depth=1
	s_sub_co_i32 s2, 0, s12
	s_delay_alu instid0(SALU_CYCLE_1) | instskip(NEXT) | instid1(VALU_DEP_1)
	v_mul_lo_u32 v3, s2, v14
	v_mul_hi_u32 v3, v14, v3
	s_delay_alu instid0(VALU_DEP_1) | instskip(NEXT) | instid1(VALU_DEP_1)
	v_add_nc_u32_e32 v3, v14, v3
	v_mul_hi_u32 v3, v0, v3
	s_delay_alu instid0(VALU_DEP_1) | instskip(NEXT) | instid1(VALU_DEP_1)
	v_mul_lo_u32 v4, v3, s12
	v_sub_nc_u32_e32 v4, v0, v4
	s_delay_alu instid0(VALU_DEP_1) | instskip(SKIP_1) | instid1(VALU_DEP_2)
	v_subrev_nc_u32_e32 v6, s12, v4
	v_cmp_le_u32_e32 vcc_lo, s12, v4
	v_dual_cndmask_b32 v4, v4, v6 :: v_dual_add_nc_u32 v5, 1, v3
	s_delay_alu instid0(VALU_DEP_1) | instskip(NEXT) | instid1(VALU_DEP_2)
	v_cndmask_b32_e32 v3, v3, v5, vcc_lo
	v_cmp_le_u32_e32 vcc_lo, s12, v4
	s_delay_alu instid0(VALU_DEP_2) | instskip(NEXT) | instid1(VALU_DEP_1)
	v_add_nc_u32_e32 v5, 1, v3
	v_dual_cndmask_b32 v4, v3, v5 :: v_dual_mov_b32 v5, v2
.LBB23_8:                               ;   in Loop: Header=BB23_4 Depth=1
	s_or_b32 exec_lo, exec_lo, s1
	s_delay_alu instid0(VALU_DEP_1) | instskip(SKIP_1) | instid1(VALU_DEP_1)
	v_or_b32_e32 v3, s11, v5
                                        ; implicit-def: $vgpr6_vgpr7
	s_mov_b32 s1, exec_lo
	v_cmpx_ne_u64_e32 0, v[2:3]
	s_xor_b32 s43, exec_lo, s1
	s_cbranch_execz .LBB23_10
; %bb.9:                                ;   in Loop: Header=BB23_4 Depth=1
	s_ashr_i32 s44, s11, 31
	v_dual_mov_b32 v11, v2 :: v_dual_ashrrev_i32 v6, 31, v5
	s_mov_b32 s45, s44
	s_delay_alu instid0(SALU_CYCLE_1) | instskip(NEXT) | instid1(VALU_DEP_1)
	s_add_nc_u64 s[46:47], s[10:11], s[44:45]
	v_mov_b32_e32 v7, v6
	s_xor_b64 s[46:47], s[46:47], s[44:45]
	s_delay_alu instid0(SALU_CYCLE_1)
	s_cvt_f32_u32 s1, s46
	s_cvt_f32_u32 s2, s47
	s_sub_nc_u64 s[58:59], 0, s[46:47]
	v_add_nc_u64_e32 v[8:9], v[4:5], v[6:7]
	v_mov_b32_e32 v17, v2
	s_fmamk_f32 s1, s2, 0x4f800000, s1
	s_delay_alu instid0(SALU_CYCLE_3) | instskip(NEXT) | instid1(VALU_DEP_2)
	v_s_rcp_f32 s1, s1
	v_xor_b32_e32 v10, v8, v6
	s_delay_alu instid0(VALU_DEP_3) | instskip(NEXT) | instid1(TRANS32_DEP_1)
	v_dual_mov_b32 v21, v2 :: v_dual_bitop2_b32 v16, v9, v6 bitop3:0x14
	s_mul_f32 s1, s1, 0x5f7ffffc
	s_delay_alu instid0(SALU_CYCLE_3) | instskip(NEXT) | instid1(SALU_CYCLE_3)
	s_mul_f32 s2, s1, 0x2f800000
	s_trunc_f32 s2, s2
	s_delay_alu instid0(SALU_CYCLE_3) | instskip(SKIP_1) | instid1(SALU_CYCLE_2)
	s_fmamk_f32 s1, s2, 0xcf800000, s1
	s_cvt_u32_f32 s57, s2
	s_cvt_u32_f32 s56, s1
	s_delay_alu instid0(SALU_CYCLE_3) | instskip(NEXT) | instid1(SALU_CYCLE_1)
	s_mul_u64 s[60:61], s[58:59], s[56:57]
	s_mul_hi_u32 s63, s56, s61
	s_mul_i32 s62, s56, s61
	s_mul_hi_u32 s2, s56, s60
	s_mul_i32 s45, s57, s60
	s_add_nc_u64 s[62:63], s[2:3], s[62:63]
	s_mul_hi_u32 s1, s57, s60
	s_mul_hi_u32 s55, s57, s61
	s_add_co_u32 s2, s62, s45
	s_add_co_ci_u32 s2, s63, s1
	s_mul_i32 s60, s57, s61
	s_add_co_ci_u32 s61, s55, 0
	s_delay_alu instid0(SALU_CYCLE_1) | instskip(NEXT) | instid1(SALU_CYCLE_1)
	s_add_nc_u64 s[60:61], s[2:3], s[60:61]
	s_add_co_u32 s56, s56, s60
	s_cselect_b32 s1, -1, 0
	s_delay_alu instid0(SALU_CYCLE_1) | instskip(SKIP_1) | instid1(SALU_CYCLE_1)
	s_cmp_lg_u32 s1, 0
	s_add_co_ci_u32 s57, s57, s61
	s_mul_u64 s[58:59], s[58:59], s[56:57]
	s_delay_alu instid0(SALU_CYCLE_1)
	s_mul_hi_u32 s61, s56, s59
	s_mul_i32 s60, s56, s59
	s_mul_hi_u32 s2, s56, s58
	s_mul_i32 s45, s57, s58
	s_add_nc_u64 s[60:61], s[2:3], s[60:61]
	s_mul_hi_u32 s1, s57, s58
	s_mul_hi_u32 s55, s57, s59
	s_add_co_u32 s2, s60, s45
	s_add_co_ci_u32 s2, s61, s1
	s_mul_i32 s58, s57, s59
	s_add_co_ci_u32 s59, s55, 0
	s_delay_alu instid0(SALU_CYCLE_1) | instskip(NEXT) | instid1(SALU_CYCLE_1)
	s_add_nc_u64 s[58:59], s[2:3], s[58:59]
	s_add_co_u32 s56, s56, s58
	s_cselect_b32 s1, -1, 0
	v_mul_hi_u32 v20, v10, s56
	s_cmp_lg_u32 s1, 0
	s_add_co_ci_u32 s2, s57, s59
	s_and_b64 s[58:59], s[56:57], s[36:37]
	v_mul_u64_e32 v[12:13], s[2:3], v[10:11]
	v_mul_u64_e32 v[8:9], s[58:59], v[16:17]
	;; [unrolled: 1-line block ×3, first 2 shown]
	s_delay_alu instid0(VALU_DEP_3) | instskip(NEXT) | instid1(VALU_DEP_1)
	v_add_nc_u64_e32 v[12:13], v[20:21], v[12:13]
	v_add_co_u32 v3, vcc_lo, v12, v8
	s_delay_alu instid0(VALU_DEP_2) | instskip(NEXT) | instid1(VALU_DEP_4)
	v_add_co_ci_u32_e32 v20, vcc_lo, v13, v9, vcc_lo
	v_add_co_ci_u32_e32 v19, vcc_lo, 0, v19, vcc_lo
	s_delay_alu instid0(VALU_DEP_1) | instskip(NEXT) | instid1(VALU_DEP_1)
	v_add_nc_u64_e32 v[8:9], v[20:21], v[18:19]
	v_mul_u64_e32 v[12:13], s[46:47], v[8:9]
	s_delay_alu instid0(VALU_DEP_1) | instskip(NEXT) | instid1(VALU_DEP_2)
	v_sub_nc_u32_e32 v3, v16, v13
	v_sub_co_u32 v5, vcc_lo, v10, v12
	s_delay_alu instid0(VALU_DEP_1) | instskip(NEXT) | instid1(VALU_DEP_3)
	v_sub_co_ci_u32_e64 v15, null, v16, v13, vcc_lo
	v_subrev_co_ci_u32_e64 v3, null, s47, v3, vcc_lo
	s_delay_alu instid0(VALU_DEP_3) | instskip(SKIP_1) | instid1(VALU_DEP_3)
	v_sub_co_u32 v7, s1, v5, s46
	v_add_nc_u64_e32 v[12:13], 1, v[8:9]
	v_subrev_co_ci_u32_e64 v3, null, 0, v3, s1
	s_delay_alu instid0(VALU_DEP_3) | instskip(SKIP_1) | instid1(VALU_DEP_3)
	v_cmp_le_u32_e32 vcc_lo, s46, v7
	v_cndmask_b32_e64 v7, 0, -1, vcc_lo
	v_cmp_le_u32_e32 vcc_lo, s47, v3
	v_cndmask_b32_e64 v10, 0, -1, vcc_lo
	;; [unrolled: 2-line block ×4, first 2 shown]
	v_cmp_eq_u32_e32 vcc_lo, s47, v3
	v_cndmask_b32_e32 v3, v10, v7, vcc_lo
	v_cmp_eq_u32_e32 vcc_lo, s47, v15
	v_add_nc_u64_e32 v[10:11], 2, v[8:9]
	v_cndmask_b32_e32 v5, v16, v5, vcc_lo
	s_delay_alu instid0(VALU_DEP_4) | instskip(NEXT) | instid1(VALU_DEP_2)
	v_cmp_ne_u32_e32 vcc_lo, 0, v3
	v_cmp_ne_u32_e64 s1, 0, v5
	s_delay_alu instid0(VALU_DEP_4) | instskip(NEXT) | instid1(VALU_DEP_1)
	v_dual_cndmask_b32 v3, v13, v11, vcc_lo :: v_dual_cndmask_b32 v5, v12, v10, vcc_lo
	v_dual_cndmask_b32 v3, v9, v3, s1 :: v_dual_bitop2_b32 v6, s44, v6 bitop3:0x14
	s_delay_alu instid0(VALU_DEP_1) | instskip(NEXT) | instid1(VALU_DEP_2)
	v_dual_cndmask_b32 v5, v8, v5, s1 :: v_dual_mov_b32 v7, v6
	v_xor_b32_e32 v9, v3, v6
	s_delay_alu instid0(VALU_DEP_2) | instskip(NEXT) | instid1(VALU_DEP_1)
	v_xor_b32_e32 v8, v5, v6
	v_sub_nc_u64_e32 v[6:7], v[8:9], v[6:7]
.LBB23_10:                              ;   in Loop: Header=BB23_4 Depth=1
	s_and_not1_saveexec_b32 s1, s43
	s_cbranch_execz .LBB23_12
; %bb.11:                               ;   in Loop: Header=BB23_4 Depth=1
	v_cvt_f32_u32_e32 v3, s10
	s_sub_co_i32 s2, 0, s10
	s_delay_alu instid0(VALU_DEP_1) | instskip(SKIP_1) | instid1(TRANS32_DEP_1)
	v_rcp_iflag_f32_e32 v3, v3
	v_nop
	v_mul_f32_e32 v3, 0x4f7ffffe, v3
	s_delay_alu instid0(VALU_DEP_1) | instskip(NEXT) | instid1(VALU_DEP_1)
	v_cvt_u32_f32_e32 v3, v3
	v_mul_lo_u32 v5, s2, v3
	s_delay_alu instid0(VALU_DEP_1) | instskip(NEXT) | instid1(VALU_DEP_1)
	v_mul_hi_u32 v5, v3, v5
	v_add_nc_u32_e32 v3, v3, v5
	s_delay_alu instid0(VALU_DEP_1) | instskip(NEXT) | instid1(VALU_DEP_1)
	v_mul_hi_u32 v3, v4, v3
	v_mul_lo_u32 v5, v3, s10
	s_delay_alu instid0(VALU_DEP_1) | instskip(NEXT) | instid1(VALU_DEP_1)
	v_dual_add_nc_u32 v6, 1, v3 :: v_dual_sub_nc_u32 v5, v4, v5
	v_subrev_nc_u32_e32 v7, s10, v5
	v_cmp_le_u32_e32 vcc_lo, s10, v5
	s_delay_alu instid0(VALU_DEP_2) | instskip(NEXT) | instid1(VALU_DEP_4)
	v_dual_cndmask_b32 v5, v5, v7, vcc_lo :: v_dual_mov_b32 v7, v2
	v_cndmask_b32_e32 v3, v3, v6, vcc_lo
	s_delay_alu instid0(VALU_DEP_2) | instskip(NEXT) | instid1(VALU_DEP_2)
	v_cmp_le_u32_e32 vcc_lo, s10, v5
	v_add_nc_u32_e32 v6, 1, v3
	s_delay_alu instid0(VALU_DEP_1)
	v_cndmask_b32_e32 v6, v3, v6, vcc_lo
.LBB23_12:                              ;   in Loop: Header=BB23_4 Depth=1
	s_or_b32 exec_lo, exec_lo, s1
	s_delay_alu instid0(VALU_DEP_1) | instskip(SKIP_1) | instid1(VALU_DEP_1)
	v_or_b32_e32 v3, s9, v7
                                        ; implicit-def: $vgpr12_vgpr13
	s_mov_b32 s1, exec_lo
	v_cmpx_ne_u64_e32 0, v[2:3]
	s_xor_b32 s43, exec_lo, s1
	s_cbranch_execz .LBB23_14
; %bb.13:                               ;   in Loop: Header=BB23_4 Depth=1
	s_ashr_i32 s44, s9, 31
	v_dual_mov_b32 v13, v2 :: v_dual_ashrrev_i32 v8, 31, v7
	s_mov_b32 s45, s44
	v_mov_b32_e32 v23, v2
	s_add_nc_u64 s[46:47], s[8:9], s[44:45]
	s_delay_alu instid0(VALU_DEP_2) | instskip(SKIP_1) | instid1(SALU_CYCLE_1)
	v_mov_b32_e32 v9, v8
	s_xor_b64 s[46:47], s[46:47], s[44:45]
	s_cvt_f32_u32 s1, s46
	s_cvt_f32_u32 s2, s47
	s_sub_nc_u64 s[58:59], 0, s[46:47]
	v_add_nc_u64_e32 v[10:11], v[6:7], v[8:9]
	v_mov_b32_e32 v19, v2
	s_fmamk_f32 s1, s2, 0x4f800000, s1
	s_delay_alu instid0(SALU_CYCLE_3) | instskip(NEXT) | instid1(VALU_DEP_2)
	v_s_rcp_f32 s1, s1
	v_xor_b32_e32 v12, v10, v8
	s_delay_alu instid0(VALU_DEP_3) | instskip(SKIP_1) | instid1(TRANS32_DEP_1)
	v_xor_b32_e32 v18, v11, v8
	v_xor_b32_e32 v8, s44, v8
	s_mul_f32 s1, s1, 0x5f7ffffc
	s_delay_alu instid0(SALU_CYCLE_3) | instskip(NEXT) | instid1(SALU_CYCLE_3)
	s_mul_f32 s2, s1, 0x2f800000
	s_trunc_f32 s2, s2
	s_delay_alu instid0(SALU_CYCLE_3) | instskip(SKIP_1) | instid1(SALU_CYCLE_2)
	s_fmamk_f32 s1, s2, 0xcf800000, s1
	s_cvt_u32_f32 s57, s2
	s_cvt_u32_f32 s56, s1
	s_delay_alu instid0(SALU_CYCLE_3) | instskip(NEXT) | instid1(SALU_CYCLE_1)
	s_mul_u64 s[60:61], s[58:59], s[56:57]
	s_mul_hi_u32 s63, s56, s61
	s_mul_i32 s62, s56, s61
	s_mul_hi_u32 s2, s56, s60
	s_mul_i32 s45, s57, s60
	s_add_nc_u64 s[62:63], s[2:3], s[62:63]
	s_mul_hi_u32 s1, s57, s60
	s_mul_hi_u32 s55, s57, s61
	s_add_co_u32 s2, s62, s45
	s_add_co_ci_u32 s2, s63, s1
	s_mul_i32 s60, s57, s61
	s_add_co_ci_u32 s61, s55, 0
	s_delay_alu instid0(SALU_CYCLE_1) | instskip(NEXT) | instid1(SALU_CYCLE_1)
	s_add_nc_u64 s[60:61], s[2:3], s[60:61]
	s_add_co_u32 s56, s56, s60
	s_cselect_b32 s1, -1, 0
	s_delay_alu instid0(SALU_CYCLE_1) | instskip(SKIP_1) | instid1(SALU_CYCLE_1)
	s_cmp_lg_u32 s1, 0
	s_add_co_ci_u32 s57, s57, s61
	s_mul_u64 s[58:59], s[58:59], s[56:57]
	s_delay_alu instid0(SALU_CYCLE_1)
	s_mul_hi_u32 s61, s56, s59
	s_mul_i32 s60, s56, s59
	s_mul_hi_u32 s2, s56, s58
	s_mul_i32 s45, s57, s58
	s_add_nc_u64 s[60:61], s[2:3], s[60:61]
	s_mul_hi_u32 s1, s57, s58
	s_mul_hi_u32 s55, s57, s59
	s_add_co_u32 s2, s60, s45
	s_add_co_ci_u32 s2, s61, s1
	s_mul_i32 s58, s57, s59
	s_add_co_ci_u32 s59, s55, 0
	s_delay_alu instid0(SALU_CYCLE_1) | instskip(NEXT) | instid1(SALU_CYCLE_1)
	s_add_nc_u64 s[58:59], s[2:3], s[58:59]
	s_add_co_u32 s56, s56, s58
	s_cselect_b32 s1, -1, 0
	v_mul_hi_u32 v22, v12, s56
	s_cmp_lg_u32 s1, 0
	s_add_co_ci_u32 s2, s57, s59
	s_and_b64 s[58:59], s[56:57], s[36:37]
	v_mul_u64_e32 v[16:17], s[2:3], v[12:13]
	v_mul_u64_e32 v[10:11], s[58:59], v[18:19]
	;; [unrolled: 1-line block ×3, first 2 shown]
	s_delay_alu instid0(VALU_DEP_3) | instskip(NEXT) | instid1(VALU_DEP_1)
	v_add_nc_u64_e32 v[16:17], v[22:23], v[16:17]
	v_add_co_u32 v3, vcc_lo, v16, v10
	s_delay_alu instid0(VALU_DEP_2) | instskip(NEXT) | instid1(VALU_DEP_4)
	v_add_co_ci_u32_e32 v22, vcc_lo, v17, v11, vcc_lo
	v_add_co_ci_u32_e32 v21, vcc_lo, 0, v21, vcc_lo
	s_delay_alu instid0(VALU_DEP_1) | instskip(NEXT) | instid1(VALU_DEP_1)
	v_add_nc_u64_e32 v[10:11], v[22:23], v[20:21]
	v_mul_u64_e32 v[16:17], s[46:47], v[10:11]
	s_delay_alu instid0(VALU_DEP_1) | instskip(NEXT) | instid1(VALU_DEP_2)
	v_sub_nc_u32_e32 v3, v18, v17
	v_sub_co_u32 v5, vcc_lo, v12, v16
	s_delay_alu instid0(VALU_DEP_1) | instskip(NEXT) | instid1(VALU_DEP_3)
	v_sub_co_ci_u32_e64 v9, null, v18, v17, vcc_lo
	v_subrev_co_ci_u32_e64 v3, null, s47, v3, vcc_lo
	s_delay_alu instid0(VALU_DEP_3) | instskip(SKIP_1) | instid1(VALU_DEP_3)
	v_sub_co_u32 v7, s1, v5, s46
	v_add_nc_u64_e32 v[16:17], 1, v[10:11]
	v_subrev_co_ci_u32_e64 v3, null, 0, v3, s1
	s_delay_alu instid0(VALU_DEP_3) | instskip(SKIP_1) | instid1(VALU_DEP_3)
	v_cmp_le_u32_e32 vcc_lo, s46, v7
	v_cndmask_b32_e64 v7, 0, -1, vcc_lo
	v_cmp_le_u32_e32 vcc_lo, s47, v3
	v_cndmask_b32_e64 v12, 0, -1, vcc_lo
	v_cmp_le_u32_e32 vcc_lo, s46, v5
	v_cndmask_b32_e64 v5, 0, -1, vcc_lo
	v_cmp_le_u32_e32 vcc_lo, s47, v9
	v_cndmask_b32_e64 v15, 0, -1, vcc_lo
	v_cmp_eq_u32_e32 vcc_lo, s47, v3
	v_cndmask_b32_e32 v3, v12, v7, vcc_lo
	v_cmp_eq_u32_e32 vcc_lo, s47, v9
	v_add_nc_u64_e32 v[12:13], 2, v[10:11]
	v_dual_mov_b32 v9, v8 :: v_dual_cndmask_b32 v5, v15, v5, vcc_lo
	s_delay_alu instid0(VALU_DEP_4) | instskip(NEXT) | instid1(VALU_DEP_2)
	v_cmp_ne_u32_e32 vcc_lo, 0, v3
	v_cmp_ne_u32_e64 s1, 0, v5
	s_delay_alu instid0(VALU_DEP_4) | instskip(NEXT) | instid1(VALU_DEP_1)
	v_dual_cndmask_b32 v3, v17, v13, vcc_lo :: v_dual_cndmask_b32 v5, v16, v12, vcc_lo
	v_dual_cndmask_b32 v3, v11, v3, s1 :: v_dual_cndmask_b32 v5, v10, v5, s1
	s_delay_alu instid0(VALU_DEP_1) | instskip(NEXT) | instid1(VALU_DEP_2)
	v_xor_b32_e32 v11, v3, v8
	v_xor_b32_e32 v10, v5, v8
	s_delay_alu instid0(VALU_DEP_1)
	v_sub_nc_u64_e32 v[12:13], v[10:11], v[8:9]
.LBB23_14:                              ;   in Loop: Header=BB23_4 Depth=1
	s_and_not1_saveexec_b32 s1, s43
	s_cbranch_execz .LBB23_16
; %bb.15:                               ;   in Loop: Header=BB23_4 Depth=1
	v_cvt_f32_u32_e32 v3, s8
	s_sub_co_i32 s2, 0, s8
	s_delay_alu instid0(VALU_DEP_1) | instskip(SKIP_1) | instid1(TRANS32_DEP_1)
	v_rcp_iflag_f32_e32 v3, v3
	v_nop
	v_mul_f32_e32 v3, 0x4f7ffffe, v3
	s_delay_alu instid0(VALU_DEP_1) | instskip(NEXT) | instid1(VALU_DEP_1)
	v_cvt_u32_f32_e32 v3, v3
	v_mul_lo_u32 v5, s2, v3
	s_delay_alu instid0(VALU_DEP_1) | instskip(NEXT) | instid1(VALU_DEP_1)
	v_mul_hi_u32 v5, v3, v5
	v_add_nc_u32_e32 v3, v3, v5
	s_delay_alu instid0(VALU_DEP_1) | instskip(NEXT) | instid1(VALU_DEP_1)
	v_mul_hi_u32 v3, v6, v3
	v_mul_lo_u32 v5, v3, s8
	s_delay_alu instid0(VALU_DEP_1) | instskip(NEXT) | instid1(VALU_DEP_1)
	v_sub_nc_u32_e32 v5, v6, v5
	v_subrev_nc_u32_e32 v8, s8, v5
	v_cmp_le_u32_e32 vcc_lo, s8, v5
	s_delay_alu instid0(VALU_DEP_2) | instskip(NEXT) | instid1(VALU_DEP_1)
	v_dual_add_nc_u32 v7, 1, v3 :: v_dual_cndmask_b32 v5, v5, v8, vcc_lo
	v_cndmask_b32_e32 v3, v3, v7, vcc_lo
	s_delay_alu instid0(VALU_DEP_2) | instskip(NEXT) | instid1(VALU_DEP_2)
	v_cmp_le_u32_e32 vcc_lo, s8, v5
	v_add_nc_u32_e32 v7, 1, v3
	s_delay_alu instid0(VALU_DEP_1)
	v_cndmask_b32_e32 v12, v3, v7, vcc_lo
.LBB23_16:                              ;   in Loop: Header=BB23_4 Depth=1
	s_or_b32 exec_lo, exec_lo, s1
	v_mul_lo_u32 v3, v6, s10
	s_mov_b32 s1, exec_lo
	v_dual_mov_b32 v8, 0 :: v_dual_mov_b32 v10, 0
	s_delay_alu instid0(VALU_DEP_2) | instskip(NEXT) | instid1(VALU_DEP_1)
	v_sub_nc_u32_e32 v3, v4, v3
	v_add_nc_u32_e32 v3, s24, v3
	s_delay_alu instid0(VALU_DEP_1)
	v_cmpx_le_i32_e64 s20, v3
	s_cbranch_execz .LBB23_18
; %bb.17:                               ;   in Loop: Header=BB23_4 Depth=1
	v_subrev_nc_u32_e32 v10, s20, v3
	v_mov_b32_e32 v11, v2
	s_delay_alu instid0(VALU_DEP_1) | instskip(NEXT) | instid1(VALU_DEP_1)
	v_mul_u64_e32 v[16:17], s[30:31], v[10:11]
	v_mul_lo_u32 v5, v17, s33
	v_add_nc_u32_e32 v7, 1, v17
	s_delay_alu instid0(VALU_DEP_2) | instskip(NEXT) | instid1(VALU_DEP_1)
	v_sub_nc_u32_e32 v5, v10, v5
	v_cmp_le_u32_e32 vcc_lo, s33, v5
	s_delay_alu instid0(VALU_DEP_3) | instskip(SKIP_1) | instid1(VALU_DEP_1)
	v_cndmask_b32_e32 v7, v17, v7, vcc_lo
	v_subrev_nc_u32_e32 v9, s33, v5
	v_dual_cndmask_b32 v5, v5, v9, vcc_lo :: v_dual_add_nc_u32 v9, 1, v7
	s_delay_alu instid0(VALU_DEP_1) | instskip(NEXT) | instid1(VALU_DEP_2)
	v_cmp_le_u32_e32 vcc_lo, s33, v5
	v_cndmask_b32_e32 v5, v7, v9, vcc_lo
	s_delay_alu instid0(VALU_DEP_1) | instskip(NEXT) | instid1(VALU_DEP_1)
	v_xor_b32_e32 v5, s51, v5
	v_subrev_nc_u32_e32 v5, s51, v5
	s_delay_alu instid0(VALU_DEP_1)
	v_add_nc_u32_e32 v10, 1, v5
.LBB23_18:                              ;   in Loop: Header=BB23_4 Depth=1
	s_or_b32 exec_lo, exec_lo, s1
	v_mul_lo_u32 v4, v4, s12
	s_mov_b32 s1, exec_lo
	s_delay_alu instid0(VALU_DEP_1) | instskip(NEXT) | instid1(VALU_DEP_1)
	v_sub_nc_u32_e32 v4, v0, v4
	v_add_nc_u32_e32 v4, s25, v4
	s_delay_alu instid0(VALU_DEP_1)
	v_cmpx_le_i32_e64 s21, v4
	s_cbranch_execz .LBB23_20
; %bb.19:                               ;   in Loop: Header=BB23_4 Depth=1
	v_subrev_nc_u32_e32 v8, s21, v4
	v_mov_b32_e32 v9, v2
	s_delay_alu instid0(VALU_DEP_1) | instskip(NEXT) | instid1(VALU_DEP_1)
	v_mul_u64_e32 v[16:17], s[34:35], v[8:9]
	v_mul_lo_u32 v5, v17, s48
	s_delay_alu instid0(VALU_DEP_1) | instskip(NEXT) | instid1(VALU_DEP_1)
	v_sub_nc_u32_e32 v5, v8, v5
	v_subrev_nc_u32_e32 v8, s48, v5
	v_cmp_le_u32_e32 vcc_lo, s48, v5
	s_delay_alu instid0(VALU_DEP_2) | instskip(NEXT) | instid1(VALU_DEP_1)
	v_dual_add_nc_u32 v7, 1, v17 :: v_dual_cndmask_b32 v5, v5, v8, vcc_lo
	v_cndmask_b32_e32 v7, v17, v7, vcc_lo
	s_delay_alu instid0(VALU_DEP_2) | instskip(NEXT) | instid1(VALU_DEP_2)
	v_cmp_le_u32_e32 vcc_lo, s48, v5
	v_add_nc_u32_e32 v8, 1, v7
	s_delay_alu instid0(VALU_DEP_1) | instskip(NEXT) | instid1(VALU_DEP_1)
	v_cndmask_b32_e32 v5, v7, v8, vcc_lo
	v_xor_b32_e32 v5, s52, v5
	s_delay_alu instid0(VALU_DEP_1) | instskip(NEXT) | instid1(VALU_DEP_1)
	v_subrev_nc_u32_e32 v5, s52, v5
	v_add_nc_u32_e32 v8, 1, v5
.LBB23_20:                              ;   in Loop: Header=BB23_4 Depth=1
	s_or_b32 exec_lo, exec_lo, s1
	v_dual_sub_nc_u32 v5, 0, v3 :: v_dual_mov_b32 v17, v2
	s_mov_b32 s43, exec_lo
	s_delay_alu instid0(VALU_DEP_1) | instskip(NEXT) | instid1(VALU_DEP_1)
	v_max_i32_e32 v16, v3, v5
	v_mul_u64_e32 v[18:19], s[30:31], v[16:17]
	s_delay_alu instid0(VALU_DEP_1) | instskip(NEXT) | instid1(VALU_DEP_1)
	v_mul_lo_u32 v5, v19, s33
	v_dual_add_nc_u32 v7, 1, v19 :: v_dual_sub_nc_u32 v5, v16, v5
	s_delay_alu instid0(VALU_DEP_1) | instskip(NEXT) | instid1(VALU_DEP_2)
	v_cmp_le_u32_e32 vcc_lo, s33, v5
	v_cndmask_b32_e32 v7, v19, v7, vcc_lo
	v_subrev_nc_u32_e32 v9, s33, v5
	s_delay_alu instid0(VALU_DEP_1) | instskip(NEXT) | instid1(VALU_DEP_3)
	v_dual_ashrrev_i32 v3, 31, v3 :: v_dual_cndmask_b32 v5, v5, v9, vcc_lo
	v_add_nc_u32_e32 v9, 1, v7
	s_delay_alu instid0(VALU_DEP_2) | instskip(NEXT) | instid1(VALU_DEP_2)
	v_cmp_le_u32_e32 vcc_lo, s33, v5
	v_dual_cndmask_b32 v5, v7, v9, vcc_lo :: v_dual_bitop2_b32 v3, s51, v3 bitop3:0x14
	s_delay_alu instid0(VALU_DEP_1) | instskip(NEXT) | instid1(VALU_DEP_1)
	v_dual_mov_b32 v9, 0 :: v_dual_bitop2_b32 v5, v5, v3 bitop3:0x14
	v_sub_nc_u32_e32 v3, v5, v3
	s_delay_alu instid0(VALU_DEP_1) | instskip(NEXT) | instid1(VALU_DEP_1)
	v_add_min_i32_e64 v3, v3, 1, s14
	v_cmpx_lt_i32_e64 v10, v3
	s_cbranch_execz .LBB23_3
; %bb.21:                               ;   in Loop: Header=BB23_4 Depth=1
	v_dual_sub_nc_u32 v5, 0, v4 :: v_dual_mov_b32 v17, v2
	v_dual_ashrrev_i32 v11, 31, v10 :: v_dual_ashrrev_i32 v9, 31, v8
	v_mul_lo_u32 v15, s23, v8
	s_delay_alu instid0(VALU_DEP_3) | instskip(SKIP_1) | instid1(VALU_DEP_4)
	v_max_i32_e32 v16, v4, v5
	v_mul_lo_u32 v5, v12, s8
	v_lshlrev_b64_e32 v[20:21], 1, v[10:11]
	v_lshlrev_b64_e32 v[22:23], 1, v[8:9]
	s_mov_b32 s44, 0
	s_delay_alu instid0(VALU_DEP_3) | instskip(SKIP_1) | instid1(VALU_DEP_2)
	v_dual_ashrrev_i32 v4, 31, v4 :: v_dual_sub_nc_u32 v6, v6, v5
	v_mul_u64_e32 v[18:19], s[34:35], v[16:17]
	v_dual_ashrrev_i32 v5, 31, v12 :: v_dual_ashrrev_i32 v7, 31, v6
	s_delay_alu instid0(VALU_DEP_1) | instskip(NEXT) | instid1(VALU_DEP_1)
	v_mad_nc_u64_u32 v[6:7], v12, s8, v[6:7]
	v_mad_u32 v5, v5, s8, v7
	s_delay_alu instid0(VALU_DEP_2) | instskip(NEXT) | instid1(VALU_DEP_2)
	v_mad_nc_u64_u32 v[20:21], s38, v6, v[20:21]
	v_mad_u32 v5, v12, s9, v5
	v_mul_lo_u32 v11, v19, s48
	s_delay_alu instid0(VALU_DEP_3) | instskip(NEXT) | instid1(VALU_DEP_4)
	v_mad_u32 v12, s39, v6, v21
	v_mad_nc_u64_u32 v[6:7], s16, v20, v[22:23]
	s_delay_alu instid0(VALU_DEP_3) | instskip(SKIP_1) | instid1(VALU_DEP_4)
	v_sub_nc_u32_e32 v9, v16, v11
	v_add_nc_u32_e32 v11, 1, v19
	v_mad_u32 v5, s38, v5, v12
	s_delay_alu instid0(VALU_DEP_4)
	v_mad_u32 v7, s17, v20, v7
	v_add_nc_u32_e32 v12, s15, v15
	v_cmp_le_u32_e32 vcc_lo, s48, v9
	v_cndmask_b32_e32 v11, v19, v11, vcc_lo
	v_subrev_nc_u32_e32 v13, s48, v9
	v_mad_u32 v7, s16, v5, v7
	s_delay_alu instid0(VALU_DEP_2) | instskip(NEXT) | instid1(VALU_DEP_1)
	v_dual_cndmask_b32 v9, v9, v13, vcc_lo :: v_dual_add_nc_u32 v13, 1, v11
	v_cmp_le_u32_e32 vcc_lo, s48, v9
	s_delay_alu instid0(VALU_DEP_2) | instskip(SKIP_1) | instid1(VALU_DEP_2)
	v_dual_cndmask_b32 v9, v11, v13, vcc_lo :: v_dual_bitop2_b32 v4, s52, v4 bitop3:0x14
	v_dual_add_nc_u32 v13, s53, v15 :: v_dual_sub_nc_u32 v15, s25, v15
	v_xor_b32_e32 v9, v9, v4
	s_delay_alu instid0(VALU_DEP_1) | instskip(NEXT) | instid1(VALU_DEP_1)
	v_dual_mov_b32 v9, 0 :: v_dual_sub_nc_u32 v4, v9, v4
	v_add_min_i32_e64 v11, v4, 1, s16
	v_add_nc_u64_e32 v[4:5], s[6:7], v[6:7]
	s_delay_alu instid0(VALU_DEP_2)
	v_cmp_lt_i32_e64 s1, v8, v11
	s_branch .LBB23_24
.LBB23_22:                              ;   in Loop: Header=BB23_24 Depth=2
	s_or_b32 exec_lo, exec_lo, s46
.LBB23_23:                              ;   in Loop: Header=BB23_24 Depth=2
	s_delay_alu instid0(SALU_CYCLE_1) | instskip(SKIP_2) | instid1(VALU_DEP_2)
	s_or_b32 exec_lo, exec_lo, s45
	v_add_nc_u32_e32 v10, 1, v10
	v_add_nc_u64_e32 v[4:5], s[40:41], v[4:5]
	v_cmp_ge_i32_e32 vcc_lo, v10, v3
	s_or_b32 s44, vcc_lo, s44
	s_delay_alu instid0(SALU_CYCLE_1)
	s_and_not1_b32 exec_lo, exec_lo, s44
	s_cbranch_execz .LBB23_2
.LBB23_24:                              ;   Parent Loop BB23_4 Depth=1
                                        ; =>  This Loop Header: Depth=2
                                        ;       Child Loop BB23_27 Depth 3
	s_delay_alu instid0(VALU_DEP_1)
	s_and_saveexec_b32 s45, s1
	s_cbranch_execz .LBB23_23
; %bb.25:                               ;   in Loop: Header=BB23_24 Depth=2
	v_mul_lo_u32 v6, v10, s22
	s_mov_b32 s46, 0
	v_mov_b32_e32 v17, v13
	s_delay_alu instid0(VALU_DEP_2) | instskip(SKIP_2) | instid1(VALU_DEP_3)
	v_subrev_nc_u32_e32 v19, s24, v6
	v_mov_b32_e32 v16, v15
	v_mov_b64_e32 v[6:7], v[4:5]
	v_add_min_i32_e64 v20, v19, s20, s49
	v_max_i32_e32 v21, 0, v19
	s_delay_alu instid0(VALU_DEP_2) | instskip(SKIP_1) | instid1(VALU_DEP_2)
	v_dual_mov_b32 v18, v12 :: v_dual_min_i32 v22, s10, v20
	v_sub_nc_u32_e32 v19, v20, v19
	v_cmp_gt_i32_e64 s2, v22, v21
	v_dual_mov_b32 v21, v8 :: v_dual_sub_nc_u32 v20, v22, v21
	s_branch .LBB23_27
.LBB23_26:                              ;   in Loop: Header=BB23_27 Depth=3
	s_wait_xcnt 0x0
	s_or_b32 exec_lo, exec_lo, s47
	v_dual_add_nc_u32 v21, 1, v21 :: v_dual_add_nc_u32 v18, s23, v18
	v_add_nc_u64_e32 v[6:7], 2, v[6:7]
	v_add_nc_u32_e32 v17, s23, v17
	v_subrev_nc_u32_e32 v16, s23, v16
	s_delay_alu instid0(VALU_DEP_4) | instskip(SKIP_1) | instid1(SALU_CYCLE_1)
	v_cmp_ge_i32_e32 vcc_lo, v21, v11
	s_or_b32 s46, vcc_lo, s46
	s_and_not1_b32 exec_lo, exec_lo, s46
	s_cbranch_execz .LBB23_22
.LBB23_27:                              ;   Parent Loop BB23_4 Depth=1
                                        ;     Parent Loop BB23_24 Depth=2
                                        ; =>    This Inner Loop Header: Depth=3
	v_dual_add_nc_u32 v23, s21, v18 :: v_dual_max_i32 v22, 0, v18
	s_delay_alu instid0(VALU_DEP_1) | instskip(NEXT) | instid1(VALU_DEP_1)
	v_min3_i32 v23, v23, s50, s12
	v_cmp_gt_i32_e32 vcc_lo, v23, v22
	s_and_b32 s55, s2, vcc_lo
	s_delay_alu instid0(SALU_CYCLE_1)
	s_and_saveexec_b32 s47, s55
	s_cbranch_execz .LBB23_26
; %bb.28:                               ;   in Loop: Header=BB23_27 Depth=3
	global_load_u16 v24, v[6:7], off
	v_dual_sub_nc_u32 v22, v23, v22 :: v_dual_min_i32 v25, s50, v17
	s_delay_alu instid0(VALU_DEP_1) | instskip(NEXT) | instid1(VALU_DEP_2)
	v_add_nc_u32_e32 v23, v25, v16
	v_mul_lo_u32 v22, v22, v20
	s_delay_alu instid0(VALU_DEP_2) | instskip(NEXT) | instid1(VALU_DEP_1)
	v_mul_lo_u32 v23, v23, v19
	v_cndmask_b32_e64 v22, v22, v23, s0
	s_delay_alu instid0(VALU_DEP_1) | instskip(NEXT) | instid1(VALU_DEP_1)
	v_cndmask_b32_e64 v22, v22, s28, s29
	v_cvt_f32_i32_e32 v22, v22
	s_delay_alu instid0(VALU_DEP_1) | instskip(NEXT) | instid1(VALU_DEP_1)
	v_bfe_u32 v23, v22, 16, 1
	v_add3_u32 v22, v22, v23, 0x7fff
	s_delay_alu instid0(VALU_DEP_1) | instskip(SKIP_2) | instid1(VALU_DEP_1)
	v_and_b32_e32 v22, 0xffff0000, v22
	s_wait_loadcnt 0x0
	v_lshlrev_b32_e32 v23, 16, v24
	v_div_scale_f32 v24, null, v22, v22, v23
	s_delay_alu instid0(VALU_DEP_1) | instskip(SKIP_1) | instid1(TRANS32_DEP_1)
	v_rcp_f32_e32 v25, v24
	v_nop
	v_fma_f32 v26, -v24, v25, 1.0
	s_delay_alu instid0(VALU_DEP_1) | instskip(SKIP_1) | instid1(VALU_DEP_1)
	v_fmac_f32_e32 v25, v26, v25
	v_div_scale_f32 v26, vcc_lo, v23, v22, v23
	v_mul_f32_e32 v27, v26, v25
	s_delay_alu instid0(VALU_DEP_1) | instskip(NEXT) | instid1(VALU_DEP_1)
	v_fma_f32 v28, -v24, v27, v26
	v_fmac_f32_e32 v27, v28, v25
	s_delay_alu instid0(VALU_DEP_1) | instskip(NEXT) | instid1(VALU_DEP_1)
	v_fma_f32 v24, -v24, v27, v26
	v_div_fmas_f32 v24, v24, v25, v27
	s_delay_alu instid0(VALU_DEP_1) | instskip(NEXT) | instid1(VALU_DEP_1)
	v_div_fixup_f32 v22, v24, v22, v23
	v_bfe_u32 v23, v22, 16, 1
	v_cmp_o_f32_e32 vcc_lo, v22, v22
	s_delay_alu instid0(VALU_DEP_2) | instskip(NEXT) | instid1(VALU_DEP_1)
	v_add3_u32 v23, v22, v23, 0x7fff
	v_and_b32_e32 v23, 0xffff0000, v23
	s_delay_alu instid0(VALU_DEP_1) | instskip(NEXT) | instid1(VALU_DEP_1)
	v_cndmask_b32_e32 v22, 0x7fc00000, v23, vcc_lo
	v_add_f32_e32 v9, v9, v22
	s_branch .LBB23_26
.LBB23_29:
	s_endpgm
	.section	.rodata,"a",@progbits
	.p2align	6, 0x0
	.amdhsa_kernel _ZN2at6native12_GLOBAL__N_134avg_pool2d_backward_out_cuda_frameIN3c108BFloat16EflEEvT1_PKT_llllliiiiiiPS6_ibb
		.amdhsa_group_segment_fixed_size 0
		.amdhsa_private_segment_fixed_size 0
		.amdhsa_kernarg_size 352
		.amdhsa_user_sgpr_count 2
		.amdhsa_user_sgpr_dispatch_ptr 0
		.amdhsa_user_sgpr_queue_ptr 0
		.amdhsa_user_sgpr_kernarg_segment_ptr 1
		.amdhsa_user_sgpr_dispatch_id 0
		.amdhsa_user_sgpr_kernarg_preload_length 0
		.amdhsa_user_sgpr_kernarg_preload_offset 0
		.amdhsa_user_sgpr_private_segment_size 0
		.amdhsa_wavefront_size32 1
		.amdhsa_uses_dynamic_stack 0
		.amdhsa_enable_private_segment 0
		.amdhsa_system_sgpr_workgroup_id_x 1
		.amdhsa_system_sgpr_workgroup_id_y 0
		.amdhsa_system_sgpr_workgroup_id_z 0
		.amdhsa_system_sgpr_workgroup_info 0
		.amdhsa_system_vgpr_workitem_id 0
		.amdhsa_next_free_vgpr 29
		.amdhsa_next_free_sgpr 64
		.amdhsa_named_barrier_count 0
		.amdhsa_reserve_vcc 1
		.amdhsa_float_round_mode_32 0
		.amdhsa_float_round_mode_16_64 0
		.amdhsa_float_denorm_mode_32 3
		.amdhsa_float_denorm_mode_16_64 3
		.amdhsa_fp16_overflow 0
		.amdhsa_memory_ordered 1
		.amdhsa_forward_progress 1
		.amdhsa_inst_pref_size 31
		.amdhsa_round_robin_scheduling 0
		.amdhsa_exception_fp_ieee_invalid_op 0
		.amdhsa_exception_fp_denorm_src 0
		.amdhsa_exception_fp_ieee_div_zero 0
		.amdhsa_exception_fp_ieee_overflow 0
		.amdhsa_exception_fp_ieee_underflow 0
		.amdhsa_exception_fp_ieee_inexact 0
		.amdhsa_exception_int_div_zero 0
	.end_amdhsa_kernel
	.section	.text._ZN2at6native12_GLOBAL__N_134avg_pool2d_backward_out_cuda_frameIN3c108BFloat16EflEEvT1_PKT_llllliiiiiiPS6_ibb,"axG",@progbits,_ZN2at6native12_GLOBAL__N_134avg_pool2d_backward_out_cuda_frameIN3c108BFloat16EflEEvT1_PKT_llllliiiiiiPS6_ibb,comdat
.Lfunc_end23:
	.size	_ZN2at6native12_GLOBAL__N_134avg_pool2d_backward_out_cuda_frameIN3c108BFloat16EflEEvT1_PKT_llllliiiiiiPS6_ibb, .Lfunc_end23-_ZN2at6native12_GLOBAL__N_134avg_pool2d_backward_out_cuda_frameIN3c108BFloat16EflEEvT1_PKT_llllliiiiiiPS6_ibb
                                        ; -- End function
	.set _ZN2at6native12_GLOBAL__N_134avg_pool2d_backward_out_cuda_frameIN3c108BFloat16EflEEvT1_PKT_llllliiiiiiPS6_ibb.num_vgpr, 29
	.set _ZN2at6native12_GLOBAL__N_134avg_pool2d_backward_out_cuda_frameIN3c108BFloat16EflEEvT1_PKT_llllliiiiiiPS6_ibb.num_agpr, 0
	.set _ZN2at6native12_GLOBAL__N_134avg_pool2d_backward_out_cuda_frameIN3c108BFloat16EflEEvT1_PKT_llllliiiiiiPS6_ibb.numbered_sgpr, 64
	.set _ZN2at6native12_GLOBAL__N_134avg_pool2d_backward_out_cuda_frameIN3c108BFloat16EflEEvT1_PKT_llllliiiiiiPS6_ibb.num_named_barrier, 0
	.set _ZN2at6native12_GLOBAL__N_134avg_pool2d_backward_out_cuda_frameIN3c108BFloat16EflEEvT1_PKT_llllliiiiiiPS6_ibb.private_seg_size, 0
	.set _ZN2at6native12_GLOBAL__N_134avg_pool2d_backward_out_cuda_frameIN3c108BFloat16EflEEvT1_PKT_llllliiiiiiPS6_ibb.uses_vcc, 1
	.set _ZN2at6native12_GLOBAL__N_134avg_pool2d_backward_out_cuda_frameIN3c108BFloat16EflEEvT1_PKT_llllliiiiiiPS6_ibb.uses_flat_scratch, 0
	.set _ZN2at6native12_GLOBAL__N_134avg_pool2d_backward_out_cuda_frameIN3c108BFloat16EflEEvT1_PKT_llllliiiiiiPS6_ibb.has_dyn_sized_stack, 0
	.set _ZN2at6native12_GLOBAL__N_134avg_pool2d_backward_out_cuda_frameIN3c108BFloat16EflEEvT1_PKT_llllliiiiiiPS6_ibb.has_recursion, 0
	.set _ZN2at6native12_GLOBAL__N_134avg_pool2d_backward_out_cuda_frameIN3c108BFloat16EflEEvT1_PKT_llllliiiiiiPS6_ibb.has_indirect_call, 0
	.section	.AMDGPU.csdata,"",@progbits
; Kernel info:
; codeLenInByte = 3912
; TotalNumSgprs: 66
; NumVgprs: 29
; ScratchSize: 0
; MemoryBound: 0
; FloatMode: 240
; IeeeMode: 1
; LDSByteSize: 0 bytes/workgroup (compile time only)
; SGPRBlocks: 0
; VGPRBlocks: 1
; NumSGPRsForWavesPerEU: 66
; NumVGPRsForWavesPerEU: 29
; NamedBarCnt: 0
; Occupancy: 16
; WaveLimiterHint : 0
; COMPUTE_PGM_RSRC2:SCRATCH_EN: 0
; COMPUTE_PGM_RSRC2:USER_SGPR: 2
; COMPUTE_PGM_RSRC2:TRAP_HANDLER: 0
; COMPUTE_PGM_RSRC2:TGID_X_EN: 1
; COMPUTE_PGM_RSRC2:TGID_Y_EN: 0
; COMPUTE_PGM_RSRC2:TGID_Z_EN: 0
; COMPUTE_PGM_RSRC2:TIDIG_COMP_CNT: 0
	.section	.AMDGPU.gpr_maximums,"",@progbits
	.set amdgpu.max_num_vgpr, 0
	.set amdgpu.max_num_agpr, 0
	.set amdgpu.max_num_sgpr, 0
	.section	.AMDGPU.csdata,"",@progbits
	.type	__hip_cuid_4968089a8140eb4c,@object ; @__hip_cuid_4968089a8140eb4c
	.section	.bss,"aw",@nobits
	.globl	__hip_cuid_4968089a8140eb4c
__hip_cuid_4968089a8140eb4c:
	.byte	0                               ; 0x0
	.size	__hip_cuid_4968089a8140eb4c, 1

	.ident	"AMD clang version 22.0.0git (https://github.com/RadeonOpenCompute/llvm-project roc-7.2.4 26084 f58b06dce1f9c15707c5f808fd002e18c2accf7e)"
	.section	".note.GNU-stack","",@progbits
	.addrsig
	.addrsig_sym __hip_cuid_4968089a8140eb4c
	.amdgpu_metadata
---
amdhsa.kernels:
  - .args:
      - .offset:         0
        .size:           4
        .value_kind:     by_value
      - .address_space:  global
        .offset:         8
        .size:           8
        .value_kind:     global_buffer
      - .offset:         16
        .size:           8
        .value_kind:     by_value
      - .offset:         24
        .size:           8
        .value_kind:     by_value
      - .offset:         32
        .size:           8
        .value_kind:     by_value
      - .offset:         40
        .size:           4
        .value_kind:     by_value
      - .offset:         44
        .size:           4
        .value_kind:     by_value
      - .offset:         48
        .size:           4
        .value_kind:     by_value
      - .offset:         52
        .size:           4
        .value_kind:     by_value
      - .offset:         56
        .size:           4
        .value_kind:     by_value
      - .offset:         60
        .size:           4
        .value_kind:     by_value
      - .offset:         64
        .size:           4
        .value_kind:     by_value
      - .offset:         68
        .size:           4
        .value_kind:     by_value
      - .address_space:  global
        .offset:         72
        .size:           8
        .value_kind:     global_buffer
      - .offset:         80
        .size:           4
        .value_kind:     by_value
      - .offset:         84
        .size:           1
        .value_kind:     by_value
      - .offset:         85
        .size:           1
        .value_kind:     by_value
      - .offset:         88
        .size:           4
        .value_kind:     hidden_block_count_x
      - .offset:         92
        .size:           4
        .value_kind:     hidden_block_count_y
      - .offset:         96
        .size:           4
        .value_kind:     hidden_block_count_z
      - .offset:         100
        .size:           2
        .value_kind:     hidden_group_size_x
      - .offset:         102
        .size:           2
        .value_kind:     hidden_group_size_y
      - .offset:         104
        .size:           2
        .value_kind:     hidden_group_size_z
      - .offset:         106
        .size:           2
        .value_kind:     hidden_remainder_x
      - .offset:         108
        .size:           2
        .value_kind:     hidden_remainder_y
      - .offset:         110
        .size:           2
        .value_kind:     hidden_remainder_z
      - .offset:         128
        .size:           8
        .value_kind:     hidden_global_offset_x
      - .offset:         136
        .size:           8
        .value_kind:     hidden_global_offset_y
      - .offset:         144
        .size:           8
        .value_kind:     hidden_global_offset_z
      - .offset:         152
        .size:           2
        .value_kind:     hidden_grid_dims
    .group_segment_fixed_size: 0
    .kernarg_segment_align: 8
    .kernarg_segment_size: 344
    .language:       OpenCL C
    .language_version:
      - 2
      - 0
    .max_flat_workgroup_size: 1024
    .name:           _ZN2at6native12_GLOBAL__N_130avg_pool2d_out_cuda_frame_nhwcIddEEviPKT_llliiiiiiiiPS3_ibb
    .private_segment_fixed_size: 0
    .sgpr_count:     60
    .sgpr_spill_count: 0
    .symbol:         _ZN2at6native12_GLOBAL__N_130avg_pool2d_out_cuda_frame_nhwcIddEEviPKT_llliiiiiiiiPS3_ibb.kd
    .uniform_work_group_size: 1
    .uses_dynamic_stack: false
    .vgpr_count:     24
    .vgpr_spill_count: 0
    .wavefront_size: 32
  - .args:
      - .offset:         0
        .size:           4
        .value_kind:     by_value
      - .address_space:  global
        .offset:         8
        .size:           8
        .value_kind:     global_buffer
      - .offset:         16
        .size:           8
        .value_kind:     by_value
      - .offset:         24
        .size:           8
        .value_kind:     by_value
      - .offset:         32
        .size:           8
        .value_kind:     by_value
      - .offset:         40
        .size:           8
        .value_kind:     by_value
      - .offset:         48
        .size:           4
        .value_kind:     by_value
      - .offset:         52
        .size:           4
        .value_kind:     by_value
      - .offset:         56
        .size:           4
        .value_kind:     by_value
      - .offset:         60
        .size:           4
        .value_kind:     by_value
      - .offset:         64
        .size:           4
        .value_kind:     by_value
      - .offset:         68
        .size:           4
        .value_kind:     by_value
      - .offset:         72
        .size:           4
        .value_kind:     by_value
      - .address_space:  global
        .offset:         80
        .size:           8
        .value_kind:     global_buffer
      - .offset:         88
        .size:           4
        .value_kind:     by_value
      - .offset:         92
        .size:           1
        .value_kind:     by_value
      - .offset:         93
        .size:           1
        .value_kind:     by_value
      - .offset:         96
        .size:           4
        .value_kind:     hidden_block_count_x
      - .offset:         100
        .size:           4
        .value_kind:     hidden_block_count_y
      - .offset:         104
        .size:           4
        .value_kind:     hidden_block_count_z
      - .offset:         108
        .size:           2
        .value_kind:     hidden_group_size_x
      - .offset:         110
        .size:           2
        .value_kind:     hidden_group_size_y
      - .offset:         112
        .size:           2
        .value_kind:     hidden_group_size_z
      - .offset:         114
        .size:           2
        .value_kind:     hidden_remainder_x
      - .offset:         116
        .size:           2
        .value_kind:     hidden_remainder_y
      - .offset:         118
        .size:           2
        .value_kind:     hidden_remainder_z
      - .offset:         136
        .size:           8
        .value_kind:     hidden_global_offset_x
      - .offset:         144
        .size:           8
        .value_kind:     hidden_global_offset_y
      - .offset:         152
        .size:           8
        .value_kind:     hidden_global_offset_z
      - .offset:         160
        .size:           2
        .value_kind:     hidden_grid_dims
    .group_segment_fixed_size: 0
    .kernarg_segment_align: 8
    .kernarg_segment_size: 352
    .language:       OpenCL C
    .language_version:
      - 2
      - 0
    .max_flat_workgroup_size: 1024
    .name:           _ZN2at6native12_GLOBAL__N_125avg_pool2d_out_cuda_frameIddEEviPKT_lllliiiiiiiPS3_ibb
    .private_segment_fixed_size: 0
    .sgpr_count:     56
    .sgpr_spill_count: 0
    .symbol:         _ZN2at6native12_GLOBAL__N_125avg_pool2d_out_cuda_frameIddEEviPKT_lllliiiiiiiPS3_ibb.kd
    .uniform_work_group_size: 1
    .uses_dynamic_stack: false
    .vgpr_count:     22
    .vgpr_spill_count: 0
    .wavefront_size: 32
  - .args:
      - .offset:         0
        .size:           4
        .value_kind:     by_value
      - .address_space:  global
        .offset:         8
        .size:           8
        .value_kind:     global_buffer
      - .offset:         16
        .size:           8
        .value_kind:     by_value
      - .offset:         24
        .size:           8
        .value_kind:     by_value
      - .offset:         32
        .size:           8
        .value_kind:     by_value
      - .offset:         40
        .size:           4
        .value_kind:     by_value
      - .offset:         44
        .size:           4
        .value_kind:     by_value
      - .offset:         48
        .size:           4
        .value_kind:     by_value
      - .offset:         52
        .size:           4
        .value_kind:     by_value
      - .offset:         56
        .size:           4
        .value_kind:     by_value
      - .offset:         60
        .size:           4
        .value_kind:     by_value
      - .offset:         64
        .size:           4
        .value_kind:     by_value
      - .offset:         68
        .size:           4
        .value_kind:     by_value
      - .address_space:  global
        .offset:         72
        .size:           8
        .value_kind:     global_buffer
      - .offset:         80
        .size:           4
        .value_kind:     by_value
      - .offset:         84
        .size:           1
        .value_kind:     by_value
      - .offset:         85
        .size:           1
        .value_kind:     by_value
      - .offset:         88
        .size:           4
        .value_kind:     hidden_block_count_x
      - .offset:         92
        .size:           4
        .value_kind:     hidden_block_count_y
      - .offset:         96
        .size:           4
        .value_kind:     hidden_block_count_z
      - .offset:         100
        .size:           2
        .value_kind:     hidden_group_size_x
      - .offset:         102
        .size:           2
        .value_kind:     hidden_group_size_y
      - .offset:         104
        .size:           2
        .value_kind:     hidden_group_size_z
      - .offset:         106
        .size:           2
        .value_kind:     hidden_remainder_x
      - .offset:         108
        .size:           2
        .value_kind:     hidden_remainder_y
      - .offset:         110
        .size:           2
        .value_kind:     hidden_remainder_z
      - .offset:         128
        .size:           8
        .value_kind:     hidden_global_offset_x
      - .offset:         136
        .size:           8
        .value_kind:     hidden_global_offset_y
      - .offset:         144
        .size:           8
        .value_kind:     hidden_global_offset_z
      - .offset:         152
        .size:           2
        .value_kind:     hidden_grid_dims
    .group_segment_fixed_size: 0
    .kernarg_segment_align: 8
    .kernarg_segment_size: 344
    .language:       OpenCL C
    .language_version:
      - 2
      - 0
    .max_flat_workgroup_size: 1024
    .name:           _ZN2at6native12_GLOBAL__N_130avg_pool2d_out_cuda_frame_nhwcIffEEviPKT_llliiiiiiiiPS3_ibb
    .private_segment_fixed_size: 0
    .sgpr_count:     60
    .sgpr_spill_count: 0
    .symbol:         _ZN2at6native12_GLOBAL__N_130avg_pool2d_out_cuda_frame_nhwcIffEEviPKT_llliiiiiiiiPS3_ibb.kd
    .uniform_work_group_size: 1
    .uses_dynamic_stack: false
    .vgpr_count:     24
    .vgpr_spill_count: 0
    .wavefront_size: 32
  - .args:
      - .offset:         0
        .size:           4
        .value_kind:     by_value
      - .address_space:  global
        .offset:         8
        .size:           8
        .value_kind:     global_buffer
      - .offset:         16
        .size:           8
        .value_kind:     by_value
      - .offset:         24
        .size:           8
        .value_kind:     by_value
      - .offset:         32
        .size:           8
        .value_kind:     by_value
      - .offset:         40
        .size:           8
        .value_kind:     by_value
      - .offset:         48
        .size:           4
        .value_kind:     by_value
      - .offset:         52
        .size:           4
        .value_kind:     by_value
      - .offset:         56
        .size:           4
        .value_kind:     by_value
      - .offset:         60
        .size:           4
        .value_kind:     by_value
      - .offset:         64
        .size:           4
        .value_kind:     by_value
      - .offset:         68
        .size:           4
        .value_kind:     by_value
      - .offset:         72
        .size:           4
        .value_kind:     by_value
      - .address_space:  global
        .offset:         80
        .size:           8
        .value_kind:     global_buffer
      - .offset:         88
        .size:           4
        .value_kind:     by_value
      - .offset:         92
        .size:           1
        .value_kind:     by_value
      - .offset:         93
        .size:           1
        .value_kind:     by_value
      - .offset:         96
        .size:           4
        .value_kind:     hidden_block_count_x
      - .offset:         100
        .size:           4
        .value_kind:     hidden_block_count_y
      - .offset:         104
        .size:           4
        .value_kind:     hidden_block_count_z
      - .offset:         108
        .size:           2
        .value_kind:     hidden_group_size_x
      - .offset:         110
        .size:           2
        .value_kind:     hidden_group_size_y
      - .offset:         112
        .size:           2
        .value_kind:     hidden_group_size_z
      - .offset:         114
        .size:           2
        .value_kind:     hidden_remainder_x
      - .offset:         116
        .size:           2
        .value_kind:     hidden_remainder_y
      - .offset:         118
        .size:           2
        .value_kind:     hidden_remainder_z
      - .offset:         136
        .size:           8
        .value_kind:     hidden_global_offset_x
      - .offset:         144
        .size:           8
        .value_kind:     hidden_global_offset_y
      - .offset:         152
        .size:           8
        .value_kind:     hidden_global_offset_z
      - .offset:         160
        .size:           2
        .value_kind:     hidden_grid_dims
    .group_segment_fixed_size: 0
    .kernarg_segment_align: 8
    .kernarg_segment_size: 352
    .language:       OpenCL C
    .language_version:
      - 2
      - 0
    .max_flat_workgroup_size: 1024
    .name:           _ZN2at6native12_GLOBAL__N_125avg_pool2d_out_cuda_frameIffEEviPKT_lllliiiiiiiPS3_ibb
    .private_segment_fixed_size: 0
    .sgpr_count:     56
    .sgpr_spill_count: 0
    .symbol:         _ZN2at6native12_GLOBAL__N_125avg_pool2d_out_cuda_frameIffEEviPKT_lllliiiiiiiPS3_ibb.kd
    .uniform_work_group_size: 1
    .uses_dynamic_stack: false
    .vgpr_count:     20
    .vgpr_spill_count: 0
    .wavefront_size: 32
  - .args:
      - .offset:         0
        .size:           4
        .value_kind:     by_value
      - .address_space:  global
        .offset:         8
        .size:           8
        .value_kind:     global_buffer
      - .offset:         16
        .size:           8
        .value_kind:     by_value
      - .offset:         24
        .size:           8
        .value_kind:     by_value
      - .offset:         32
        .size:           8
        .value_kind:     by_value
      - .offset:         40
        .size:           4
        .value_kind:     by_value
      - .offset:         44
        .size:           4
        .value_kind:     by_value
      - .offset:         48
        .size:           4
        .value_kind:     by_value
      - .offset:         52
        .size:           4
        .value_kind:     by_value
      - .offset:         56
        .size:           4
        .value_kind:     by_value
      - .offset:         60
        .size:           4
        .value_kind:     by_value
      - .offset:         64
        .size:           4
        .value_kind:     by_value
      - .offset:         68
        .size:           4
        .value_kind:     by_value
      - .address_space:  global
        .offset:         72
        .size:           8
        .value_kind:     global_buffer
      - .offset:         80
        .size:           4
        .value_kind:     by_value
      - .offset:         84
        .size:           1
        .value_kind:     by_value
      - .offset:         85
        .size:           1
        .value_kind:     by_value
      - .offset:         88
        .size:           4
        .value_kind:     hidden_block_count_x
      - .offset:         92
        .size:           4
        .value_kind:     hidden_block_count_y
      - .offset:         96
        .size:           4
        .value_kind:     hidden_block_count_z
      - .offset:         100
        .size:           2
        .value_kind:     hidden_group_size_x
      - .offset:         102
        .size:           2
        .value_kind:     hidden_group_size_y
      - .offset:         104
        .size:           2
        .value_kind:     hidden_group_size_z
      - .offset:         106
        .size:           2
        .value_kind:     hidden_remainder_x
      - .offset:         108
        .size:           2
        .value_kind:     hidden_remainder_y
      - .offset:         110
        .size:           2
        .value_kind:     hidden_remainder_z
      - .offset:         128
        .size:           8
        .value_kind:     hidden_global_offset_x
      - .offset:         136
        .size:           8
        .value_kind:     hidden_global_offset_y
      - .offset:         144
        .size:           8
        .value_kind:     hidden_global_offset_z
      - .offset:         152
        .size:           2
        .value_kind:     hidden_grid_dims
    .group_segment_fixed_size: 0
    .kernarg_segment_align: 8
    .kernarg_segment_size: 344
    .language:       OpenCL C
    .language_version:
      - 2
      - 0
    .max_flat_workgroup_size: 1024
    .name:           _ZN2at6native12_GLOBAL__N_130avg_pool2d_out_cuda_frame_nhwcIN3c104HalfEfEEviPKT_llliiiiiiiiPS5_ibb
    .private_segment_fixed_size: 0
    .sgpr_count:     60
    .sgpr_spill_count: 0
    .symbol:         _ZN2at6native12_GLOBAL__N_130avg_pool2d_out_cuda_frame_nhwcIN3c104HalfEfEEviPKT_llliiiiiiiiPS5_ibb.kd
    .uniform_work_group_size: 1
    .uses_dynamic_stack: false
    .vgpr_count:     24
    .vgpr_spill_count: 0
    .wavefront_size: 32
  - .args:
      - .offset:         0
        .size:           4
        .value_kind:     by_value
      - .address_space:  global
        .offset:         8
        .size:           8
        .value_kind:     global_buffer
      - .offset:         16
        .size:           8
        .value_kind:     by_value
      - .offset:         24
        .size:           8
        .value_kind:     by_value
      - .offset:         32
        .size:           8
        .value_kind:     by_value
      - .offset:         40
        .size:           8
        .value_kind:     by_value
      - .offset:         48
        .size:           4
        .value_kind:     by_value
      - .offset:         52
        .size:           4
        .value_kind:     by_value
      - .offset:         56
        .size:           4
        .value_kind:     by_value
      - .offset:         60
        .size:           4
        .value_kind:     by_value
      - .offset:         64
        .size:           4
        .value_kind:     by_value
      - .offset:         68
        .size:           4
        .value_kind:     by_value
      - .offset:         72
        .size:           4
        .value_kind:     by_value
      - .address_space:  global
        .offset:         80
        .size:           8
        .value_kind:     global_buffer
      - .offset:         88
        .size:           4
        .value_kind:     by_value
      - .offset:         92
        .size:           1
        .value_kind:     by_value
      - .offset:         93
        .size:           1
        .value_kind:     by_value
      - .offset:         96
        .size:           4
        .value_kind:     hidden_block_count_x
      - .offset:         100
        .size:           4
        .value_kind:     hidden_block_count_y
      - .offset:         104
        .size:           4
        .value_kind:     hidden_block_count_z
      - .offset:         108
        .size:           2
        .value_kind:     hidden_group_size_x
      - .offset:         110
        .size:           2
        .value_kind:     hidden_group_size_y
      - .offset:         112
        .size:           2
        .value_kind:     hidden_group_size_z
      - .offset:         114
        .size:           2
        .value_kind:     hidden_remainder_x
      - .offset:         116
        .size:           2
        .value_kind:     hidden_remainder_y
      - .offset:         118
        .size:           2
        .value_kind:     hidden_remainder_z
      - .offset:         136
        .size:           8
        .value_kind:     hidden_global_offset_x
      - .offset:         144
        .size:           8
        .value_kind:     hidden_global_offset_y
      - .offset:         152
        .size:           8
        .value_kind:     hidden_global_offset_z
      - .offset:         160
        .size:           2
        .value_kind:     hidden_grid_dims
    .group_segment_fixed_size: 0
    .kernarg_segment_align: 8
    .kernarg_segment_size: 352
    .language:       OpenCL C
    .language_version:
      - 2
      - 0
    .max_flat_workgroup_size: 1024
    .name:           _ZN2at6native12_GLOBAL__N_125avg_pool2d_out_cuda_frameIN3c104HalfEfEEviPKT_lllliiiiiiiPS5_ibb
    .private_segment_fixed_size: 0
    .sgpr_count:     56
    .sgpr_spill_count: 0
    .symbol:         _ZN2at6native12_GLOBAL__N_125avg_pool2d_out_cuda_frameIN3c104HalfEfEEviPKT_lllliiiiiiiPS5_ibb.kd
    .uniform_work_group_size: 1
    .uses_dynamic_stack: false
    .vgpr_count:     22
    .vgpr_spill_count: 0
    .wavefront_size: 32
  - .args:
      - .offset:         0
        .size:           4
        .value_kind:     by_value
      - .address_space:  global
        .offset:         8
        .size:           8
        .value_kind:     global_buffer
      - .offset:         16
        .size:           8
        .value_kind:     by_value
      - .offset:         24
        .size:           8
        .value_kind:     by_value
      - .offset:         32
        .size:           8
        .value_kind:     by_value
      - .offset:         40
        .size:           4
        .value_kind:     by_value
      - .offset:         44
        .size:           4
        .value_kind:     by_value
      - .offset:         48
        .size:           4
        .value_kind:     by_value
      - .offset:         52
        .size:           4
        .value_kind:     by_value
      - .offset:         56
        .size:           4
        .value_kind:     by_value
      - .offset:         60
        .size:           4
        .value_kind:     by_value
      - .offset:         64
        .size:           4
        .value_kind:     by_value
      - .offset:         68
        .size:           4
        .value_kind:     by_value
      - .address_space:  global
        .offset:         72
        .size:           8
        .value_kind:     global_buffer
      - .offset:         80
        .size:           4
        .value_kind:     by_value
      - .offset:         84
        .size:           1
        .value_kind:     by_value
      - .offset:         85
        .size:           1
        .value_kind:     by_value
      - .offset:         88
        .size:           4
        .value_kind:     hidden_block_count_x
      - .offset:         92
        .size:           4
        .value_kind:     hidden_block_count_y
      - .offset:         96
        .size:           4
        .value_kind:     hidden_block_count_z
      - .offset:         100
        .size:           2
        .value_kind:     hidden_group_size_x
      - .offset:         102
        .size:           2
        .value_kind:     hidden_group_size_y
      - .offset:         104
        .size:           2
        .value_kind:     hidden_group_size_z
      - .offset:         106
        .size:           2
        .value_kind:     hidden_remainder_x
      - .offset:         108
        .size:           2
        .value_kind:     hidden_remainder_y
      - .offset:         110
        .size:           2
        .value_kind:     hidden_remainder_z
      - .offset:         128
        .size:           8
        .value_kind:     hidden_global_offset_x
      - .offset:         136
        .size:           8
        .value_kind:     hidden_global_offset_y
      - .offset:         144
        .size:           8
        .value_kind:     hidden_global_offset_z
      - .offset:         152
        .size:           2
        .value_kind:     hidden_grid_dims
    .group_segment_fixed_size: 0
    .kernarg_segment_align: 8
    .kernarg_segment_size: 344
    .language:       OpenCL C
    .language_version:
      - 2
      - 0
    .max_flat_workgroup_size: 1024
    .name:           _ZN2at6native12_GLOBAL__N_130avg_pool2d_out_cuda_frame_nhwcIN3c108BFloat16EfEEviPKT_llliiiiiiiiPS5_ibb
    .private_segment_fixed_size: 0
    .sgpr_count:     60
    .sgpr_spill_count: 0
    .symbol:         _ZN2at6native12_GLOBAL__N_130avg_pool2d_out_cuda_frame_nhwcIN3c108BFloat16EfEEviPKT_llliiiiiiiiPS5_ibb.kd
    .uniform_work_group_size: 1
    .uses_dynamic_stack: false
    .vgpr_count:     24
    .vgpr_spill_count: 0
    .wavefront_size: 32
  - .args:
      - .offset:         0
        .size:           4
        .value_kind:     by_value
      - .address_space:  global
        .offset:         8
        .size:           8
        .value_kind:     global_buffer
      - .offset:         16
        .size:           8
        .value_kind:     by_value
      - .offset:         24
        .size:           8
        .value_kind:     by_value
      - .offset:         32
        .size:           8
        .value_kind:     by_value
      - .offset:         40
        .size:           8
        .value_kind:     by_value
      - .offset:         48
        .size:           4
        .value_kind:     by_value
      - .offset:         52
        .size:           4
        .value_kind:     by_value
      - .offset:         56
        .size:           4
        .value_kind:     by_value
      - .offset:         60
        .size:           4
        .value_kind:     by_value
      - .offset:         64
        .size:           4
        .value_kind:     by_value
      - .offset:         68
        .size:           4
        .value_kind:     by_value
      - .offset:         72
        .size:           4
        .value_kind:     by_value
      - .address_space:  global
        .offset:         80
        .size:           8
        .value_kind:     global_buffer
      - .offset:         88
        .size:           4
        .value_kind:     by_value
      - .offset:         92
        .size:           1
        .value_kind:     by_value
      - .offset:         93
        .size:           1
        .value_kind:     by_value
      - .offset:         96
        .size:           4
        .value_kind:     hidden_block_count_x
      - .offset:         100
        .size:           4
        .value_kind:     hidden_block_count_y
      - .offset:         104
        .size:           4
        .value_kind:     hidden_block_count_z
      - .offset:         108
        .size:           2
        .value_kind:     hidden_group_size_x
      - .offset:         110
        .size:           2
        .value_kind:     hidden_group_size_y
      - .offset:         112
        .size:           2
        .value_kind:     hidden_group_size_z
      - .offset:         114
        .size:           2
        .value_kind:     hidden_remainder_x
      - .offset:         116
        .size:           2
        .value_kind:     hidden_remainder_y
      - .offset:         118
        .size:           2
        .value_kind:     hidden_remainder_z
      - .offset:         136
        .size:           8
        .value_kind:     hidden_global_offset_x
      - .offset:         144
        .size:           8
        .value_kind:     hidden_global_offset_y
      - .offset:         152
        .size:           8
        .value_kind:     hidden_global_offset_z
      - .offset:         160
        .size:           2
        .value_kind:     hidden_grid_dims
    .group_segment_fixed_size: 0
    .kernarg_segment_align: 8
    .kernarg_segment_size: 352
    .language:       OpenCL C
    .language_version:
      - 2
      - 0
    .max_flat_workgroup_size: 1024
    .name:           _ZN2at6native12_GLOBAL__N_125avg_pool2d_out_cuda_frameIN3c108BFloat16EfEEviPKT_lllliiiiiiiPS5_ibb
    .private_segment_fixed_size: 0
    .sgpr_count:     56
    .sgpr_spill_count: 0
    .symbol:         _ZN2at6native12_GLOBAL__N_125avg_pool2d_out_cuda_frameIN3c108BFloat16EfEEviPKT_lllliiiiiiiPS5_ibb.kd
    .uniform_work_group_size: 1
    .uses_dynamic_stack: false
    .vgpr_count:     20
    .vgpr_spill_count: 0
    .wavefront_size: 32
  - .args:
      - .offset:         0
        .size:           4
        .value_kind:     by_value
      - .address_space:  global
        .offset:         8
        .size:           8
        .value_kind:     global_buffer
      - .offset:         16
        .size:           8
        .value_kind:     by_value
      - .offset:         24
        .size:           8
        .value_kind:     by_value
      - .offset:         32
        .size:           8
        .value_kind:     by_value
      - .offset:         40
        .size:           4
        .value_kind:     by_value
      - .offset:         44
        .size:           4
        .value_kind:     by_value
      - .offset:         48
        .size:           4
        .value_kind:     by_value
      - .offset:         52
        .size:           4
        .value_kind:     by_value
      - .offset:         56
        .size:           4
        .value_kind:     by_value
      - .offset:         60
        .size:           4
        .value_kind:     by_value
      - .offset:         64
        .size:           4
        .value_kind:     by_value
      - .offset:         68
        .size:           4
        .value_kind:     by_value
      - .address_space:  global
        .offset:         72
        .size:           8
        .value_kind:     global_buffer
      - .offset:         80
        .size:           4
        .value_kind:     by_value
      - .offset:         84
        .size:           1
        .value_kind:     by_value
      - .offset:         85
        .size:           1
        .value_kind:     by_value
      - .offset:         88
        .size:           4
        .value_kind:     hidden_block_count_x
      - .offset:         92
        .size:           4
        .value_kind:     hidden_block_count_y
      - .offset:         96
        .size:           4
        .value_kind:     hidden_block_count_z
      - .offset:         100
        .size:           2
        .value_kind:     hidden_group_size_x
      - .offset:         102
        .size:           2
        .value_kind:     hidden_group_size_y
      - .offset:         104
        .size:           2
        .value_kind:     hidden_group_size_z
      - .offset:         106
        .size:           2
        .value_kind:     hidden_remainder_x
      - .offset:         108
        .size:           2
        .value_kind:     hidden_remainder_y
      - .offset:         110
        .size:           2
        .value_kind:     hidden_remainder_z
      - .offset:         128
        .size:           8
        .value_kind:     hidden_global_offset_x
      - .offset:         136
        .size:           8
        .value_kind:     hidden_global_offset_y
      - .offset:         144
        .size:           8
        .value_kind:     hidden_global_offset_z
      - .offset:         152
        .size:           2
        .value_kind:     hidden_grid_dims
    .group_segment_fixed_size: 0
    .kernarg_segment_align: 8
    .kernarg_segment_size: 344
    .language:       OpenCL C
    .language_version:
      - 2
      - 0
    .max_flat_workgroup_size: 1024
    .name:           _ZN2at6native12_GLOBAL__N_139avg_pool2d_backward_out_cuda_frame_nhwcIddiEEvT1_PKT_llliiiiiiiiPS4_ibb
    .private_segment_fixed_size: 0
    .sgpr_count:     63
    .sgpr_spill_count: 0
    .symbol:         _ZN2at6native12_GLOBAL__N_139avg_pool2d_backward_out_cuda_frame_nhwcIddiEEvT1_PKT_llliiiiiiiiPS4_ibb.kd
    .uniform_work_group_size: 1
    .uses_dynamic_stack: false
    .vgpr_count:     34
    .vgpr_spill_count: 0
    .wavefront_size: 32
  - .args:
      - .offset:         0
        .size:           4
        .value_kind:     by_value
      - .address_space:  global
        .offset:         8
        .size:           8
        .value_kind:     global_buffer
      - .offset:         16
        .size:           8
        .value_kind:     by_value
      - .offset:         24
        .size:           8
        .value_kind:     by_value
      - .offset:         32
        .size:           8
        .value_kind:     by_value
      - .offset:         40
        .size:           8
        .value_kind:     by_value
      - .offset:         48
        .size:           8
        .value_kind:     by_value
      - .offset:         56
        .size:           4
        .value_kind:     by_value
      - .offset:         60
        .size:           4
        .value_kind:     by_value
      - .offset:         64
        .size:           4
        .value_kind:     by_value
      - .offset:         68
        .size:           4
        .value_kind:     by_value
      - .offset:         72
        .size:           4
        .value_kind:     by_value
      - .offset:         76
        .size:           4
        .value_kind:     by_value
      - .address_space:  global
        .offset:         80
        .size:           8
        .value_kind:     global_buffer
      - .offset:         88
        .size:           4
        .value_kind:     by_value
      - .offset:         92
        .size:           1
        .value_kind:     by_value
      - .offset:         93
        .size:           1
        .value_kind:     by_value
      - .offset:         96
        .size:           4
        .value_kind:     hidden_block_count_x
      - .offset:         100
        .size:           4
        .value_kind:     hidden_block_count_y
      - .offset:         104
        .size:           4
        .value_kind:     hidden_block_count_z
      - .offset:         108
        .size:           2
        .value_kind:     hidden_group_size_x
      - .offset:         110
        .size:           2
        .value_kind:     hidden_group_size_y
      - .offset:         112
        .size:           2
        .value_kind:     hidden_group_size_z
      - .offset:         114
        .size:           2
        .value_kind:     hidden_remainder_x
      - .offset:         116
        .size:           2
        .value_kind:     hidden_remainder_y
      - .offset:         118
        .size:           2
        .value_kind:     hidden_remainder_z
      - .offset:         136
        .size:           8
        .value_kind:     hidden_global_offset_x
      - .offset:         144
        .size:           8
        .value_kind:     hidden_global_offset_y
      - .offset:         152
        .size:           8
        .value_kind:     hidden_global_offset_z
      - .offset:         160
        .size:           2
        .value_kind:     hidden_grid_dims
    .group_segment_fixed_size: 0
    .kernarg_segment_align: 8
    .kernarg_segment_size: 352
    .language:       OpenCL C
    .language_version:
      - 2
      - 0
    .max_flat_workgroup_size: 1024
    .name:           _ZN2at6native12_GLOBAL__N_134avg_pool2d_backward_out_cuda_frameIddiEEvT1_PKT_llllliiiiiiPS4_ibb
    .private_segment_fixed_size: 0
    .sgpr_count:     64
    .sgpr_spill_count: 0
    .symbol:         _ZN2at6native12_GLOBAL__N_134avg_pool2d_backward_out_cuda_frameIddiEEvT1_PKT_llllliiiiiiPS4_ibb.kd
    .uniform_work_group_size: 1
    .uses_dynamic_stack: false
    .vgpr_count:     36
    .vgpr_spill_count: 0
    .wavefront_size: 32
  - .args:
      - .offset:         0
        .size:           8
        .value_kind:     by_value
      - .address_space:  global
        .offset:         8
        .size:           8
        .value_kind:     global_buffer
      - .offset:         16
        .size:           8
        .value_kind:     by_value
      - .offset:         24
        .size:           8
        .value_kind:     by_value
      - .offset:         32
        .size:           8
        .value_kind:     by_value
      - .offset:         40
        .size:           4
        .value_kind:     by_value
      - .offset:         44
        .size:           4
        .value_kind:     by_value
      - .offset:         48
        .size:           4
        .value_kind:     by_value
      - .offset:         52
        .size:           4
        .value_kind:     by_value
      - .offset:         56
        .size:           4
        .value_kind:     by_value
      - .offset:         60
        .size:           4
        .value_kind:     by_value
      - .offset:         64
        .size:           4
        .value_kind:     by_value
      - .offset:         68
        .size:           4
        .value_kind:     by_value
      - .address_space:  global
        .offset:         72
        .size:           8
        .value_kind:     global_buffer
      - .offset:         80
        .size:           4
        .value_kind:     by_value
      - .offset:         84
        .size:           1
        .value_kind:     by_value
      - .offset:         85
        .size:           1
        .value_kind:     by_value
      - .offset:         88
        .size:           4
        .value_kind:     hidden_block_count_x
      - .offset:         92
        .size:           4
        .value_kind:     hidden_block_count_y
      - .offset:         96
        .size:           4
        .value_kind:     hidden_block_count_z
      - .offset:         100
        .size:           2
        .value_kind:     hidden_group_size_x
      - .offset:         102
        .size:           2
        .value_kind:     hidden_group_size_y
      - .offset:         104
        .size:           2
        .value_kind:     hidden_group_size_z
      - .offset:         106
        .size:           2
        .value_kind:     hidden_remainder_x
      - .offset:         108
        .size:           2
        .value_kind:     hidden_remainder_y
      - .offset:         110
        .size:           2
        .value_kind:     hidden_remainder_z
      - .offset:         128
        .size:           8
        .value_kind:     hidden_global_offset_x
      - .offset:         136
        .size:           8
        .value_kind:     hidden_global_offset_y
      - .offset:         144
        .size:           8
        .value_kind:     hidden_global_offset_z
      - .offset:         152
        .size:           2
        .value_kind:     hidden_grid_dims
    .group_segment_fixed_size: 0
    .kernarg_segment_align: 8
    .kernarg_segment_size: 344
    .language:       OpenCL C
    .language_version:
      - 2
      - 0
    .max_flat_workgroup_size: 1024
    .name:           _ZN2at6native12_GLOBAL__N_139avg_pool2d_backward_out_cuda_frame_nhwcIddlEEvT1_PKT_llliiiiiiiiPS4_ibb
    .private_segment_fixed_size: 0
    .sgpr_count:     63
    .sgpr_spill_count: 0
    .symbol:         _ZN2at6native12_GLOBAL__N_139avg_pool2d_backward_out_cuda_frame_nhwcIddlEEvT1_PKT_llliiiiiiiiPS4_ibb.kd
    .uniform_work_group_size: 1
    .uses_dynamic_stack: false
    .vgpr_count:     34
    .vgpr_spill_count: 0
    .wavefront_size: 32
  - .args:
      - .offset:         0
        .size:           8
        .value_kind:     by_value
      - .address_space:  global
        .offset:         8
        .size:           8
        .value_kind:     global_buffer
      - .offset:         16
        .size:           8
        .value_kind:     by_value
      - .offset:         24
        .size:           8
        .value_kind:     by_value
      - .offset:         32
        .size:           8
        .value_kind:     by_value
      - .offset:         40
        .size:           8
        .value_kind:     by_value
      - .offset:         48
        .size:           8
        .value_kind:     by_value
      - .offset:         56
        .size:           4
        .value_kind:     by_value
      - .offset:         60
        .size:           4
        .value_kind:     by_value
      - .offset:         64
        .size:           4
        .value_kind:     by_value
      - .offset:         68
        .size:           4
        .value_kind:     by_value
      - .offset:         72
        .size:           4
        .value_kind:     by_value
      - .offset:         76
        .size:           4
        .value_kind:     by_value
      - .address_space:  global
        .offset:         80
        .size:           8
        .value_kind:     global_buffer
      - .offset:         88
        .size:           4
        .value_kind:     by_value
      - .offset:         92
        .size:           1
        .value_kind:     by_value
      - .offset:         93
        .size:           1
        .value_kind:     by_value
      - .offset:         96
        .size:           4
        .value_kind:     hidden_block_count_x
      - .offset:         100
        .size:           4
        .value_kind:     hidden_block_count_y
      - .offset:         104
        .size:           4
        .value_kind:     hidden_block_count_z
      - .offset:         108
        .size:           2
        .value_kind:     hidden_group_size_x
      - .offset:         110
        .size:           2
        .value_kind:     hidden_group_size_y
      - .offset:         112
        .size:           2
        .value_kind:     hidden_group_size_z
      - .offset:         114
        .size:           2
        .value_kind:     hidden_remainder_x
      - .offset:         116
        .size:           2
        .value_kind:     hidden_remainder_y
      - .offset:         118
        .size:           2
        .value_kind:     hidden_remainder_z
      - .offset:         136
        .size:           8
        .value_kind:     hidden_global_offset_x
      - .offset:         144
        .size:           8
        .value_kind:     hidden_global_offset_y
      - .offset:         152
        .size:           8
        .value_kind:     hidden_global_offset_z
      - .offset:         160
        .size:           2
        .value_kind:     hidden_grid_dims
    .group_segment_fixed_size: 0
    .kernarg_segment_align: 8
    .kernarg_segment_size: 352
    .language:       OpenCL C
    .language_version:
      - 2
      - 0
    .max_flat_workgroup_size: 1024
    .name:           _ZN2at6native12_GLOBAL__N_134avg_pool2d_backward_out_cuda_frameIddlEEvT1_PKT_llllliiiiiiPS4_ibb
    .private_segment_fixed_size: 0
    .sgpr_count:     66
    .sgpr_spill_count: 0
    .symbol:         _ZN2at6native12_GLOBAL__N_134avg_pool2d_backward_out_cuda_frameIddlEEvT1_PKT_llllliiiiiiPS4_ibb.kd
    .uniform_work_group_size: 1
    .uses_dynamic_stack: false
    .vgpr_count:     36
    .vgpr_spill_count: 0
    .wavefront_size: 32
  - .args:
      - .offset:         0
        .size:           4
        .value_kind:     by_value
      - .address_space:  global
        .offset:         8
        .size:           8
        .value_kind:     global_buffer
      - .offset:         16
        .size:           8
        .value_kind:     by_value
      - .offset:         24
        .size:           8
        .value_kind:     by_value
      - .offset:         32
        .size:           8
        .value_kind:     by_value
      - .offset:         40
        .size:           4
        .value_kind:     by_value
      - .offset:         44
        .size:           4
        .value_kind:     by_value
      - .offset:         48
        .size:           4
        .value_kind:     by_value
      - .offset:         52
        .size:           4
        .value_kind:     by_value
      - .offset:         56
        .size:           4
        .value_kind:     by_value
      - .offset:         60
        .size:           4
        .value_kind:     by_value
      - .offset:         64
        .size:           4
        .value_kind:     by_value
      - .offset:         68
        .size:           4
        .value_kind:     by_value
      - .address_space:  global
        .offset:         72
        .size:           8
        .value_kind:     global_buffer
      - .offset:         80
        .size:           4
        .value_kind:     by_value
      - .offset:         84
        .size:           1
        .value_kind:     by_value
      - .offset:         85
        .size:           1
        .value_kind:     by_value
      - .offset:         88
        .size:           4
        .value_kind:     hidden_block_count_x
      - .offset:         92
        .size:           4
        .value_kind:     hidden_block_count_y
      - .offset:         96
        .size:           4
        .value_kind:     hidden_block_count_z
      - .offset:         100
        .size:           2
        .value_kind:     hidden_group_size_x
      - .offset:         102
        .size:           2
        .value_kind:     hidden_group_size_y
      - .offset:         104
        .size:           2
        .value_kind:     hidden_group_size_z
      - .offset:         106
        .size:           2
        .value_kind:     hidden_remainder_x
      - .offset:         108
        .size:           2
        .value_kind:     hidden_remainder_y
      - .offset:         110
        .size:           2
        .value_kind:     hidden_remainder_z
      - .offset:         128
        .size:           8
        .value_kind:     hidden_global_offset_x
      - .offset:         136
        .size:           8
        .value_kind:     hidden_global_offset_y
      - .offset:         144
        .size:           8
        .value_kind:     hidden_global_offset_z
      - .offset:         152
        .size:           2
        .value_kind:     hidden_grid_dims
    .group_segment_fixed_size: 0
    .kernarg_segment_align: 8
    .kernarg_segment_size: 344
    .language:       OpenCL C
    .language_version:
      - 2
      - 0
    .max_flat_workgroup_size: 1024
    .name:           _ZN2at6native12_GLOBAL__N_139avg_pool2d_backward_out_cuda_frame_nhwcIffiEEvT1_PKT_llliiiiiiiiPS4_ibb
    .private_segment_fixed_size: 0
    .sgpr_count:     63
    .sgpr_spill_count: 0
    .symbol:         _ZN2at6native12_GLOBAL__N_139avg_pool2d_backward_out_cuda_frame_nhwcIffiEEvT1_PKT_llliiiiiiiiPS4_ibb.kd
    .uniform_work_group_size: 1
    .uses_dynamic_stack: false
    .vgpr_count:     28
    .vgpr_spill_count: 0
    .wavefront_size: 32
  - .args:
      - .offset:         0
        .size:           4
        .value_kind:     by_value
      - .address_space:  global
        .offset:         8
        .size:           8
        .value_kind:     global_buffer
      - .offset:         16
        .size:           8
        .value_kind:     by_value
      - .offset:         24
        .size:           8
        .value_kind:     by_value
      - .offset:         32
        .size:           8
        .value_kind:     by_value
      - .offset:         40
        .size:           8
        .value_kind:     by_value
      - .offset:         48
        .size:           8
        .value_kind:     by_value
      - .offset:         56
        .size:           4
        .value_kind:     by_value
      - .offset:         60
        .size:           4
        .value_kind:     by_value
      - .offset:         64
        .size:           4
        .value_kind:     by_value
      - .offset:         68
        .size:           4
        .value_kind:     by_value
      - .offset:         72
        .size:           4
        .value_kind:     by_value
      - .offset:         76
        .size:           4
        .value_kind:     by_value
      - .address_space:  global
        .offset:         80
        .size:           8
        .value_kind:     global_buffer
      - .offset:         88
        .size:           4
        .value_kind:     by_value
      - .offset:         92
        .size:           1
        .value_kind:     by_value
      - .offset:         93
        .size:           1
        .value_kind:     by_value
      - .offset:         96
        .size:           4
        .value_kind:     hidden_block_count_x
      - .offset:         100
        .size:           4
        .value_kind:     hidden_block_count_y
      - .offset:         104
        .size:           4
        .value_kind:     hidden_block_count_z
      - .offset:         108
        .size:           2
        .value_kind:     hidden_group_size_x
      - .offset:         110
        .size:           2
        .value_kind:     hidden_group_size_y
      - .offset:         112
        .size:           2
        .value_kind:     hidden_group_size_z
      - .offset:         114
        .size:           2
        .value_kind:     hidden_remainder_x
      - .offset:         116
        .size:           2
        .value_kind:     hidden_remainder_y
      - .offset:         118
        .size:           2
        .value_kind:     hidden_remainder_z
      - .offset:         136
        .size:           8
        .value_kind:     hidden_global_offset_x
      - .offset:         144
        .size:           8
        .value_kind:     hidden_global_offset_y
      - .offset:         152
        .size:           8
        .value_kind:     hidden_global_offset_z
      - .offset:         160
        .size:           2
        .value_kind:     hidden_grid_dims
    .group_segment_fixed_size: 0
    .kernarg_segment_align: 8
    .kernarg_segment_size: 352
    .language:       OpenCL C
    .language_version:
      - 2
      - 0
    .max_flat_workgroup_size: 1024
    .name:           _ZN2at6native12_GLOBAL__N_134avg_pool2d_backward_out_cuda_frameIffiEEvT1_PKT_llllliiiiiiPS4_ibb
    .private_segment_fixed_size: 0
    .sgpr_count:     64
    .sgpr_spill_count: 0
    .symbol:         _ZN2at6native12_GLOBAL__N_134avg_pool2d_backward_out_cuda_frameIffiEEvT1_PKT_llllliiiiiiPS4_ibb.kd
    .uniform_work_group_size: 1
    .uses_dynamic_stack: false
    .vgpr_count:     29
    .vgpr_spill_count: 0
    .wavefront_size: 32
  - .args:
      - .offset:         0
        .size:           8
        .value_kind:     by_value
      - .address_space:  global
        .offset:         8
        .size:           8
        .value_kind:     global_buffer
      - .offset:         16
        .size:           8
        .value_kind:     by_value
      - .offset:         24
        .size:           8
        .value_kind:     by_value
      - .offset:         32
        .size:           8
        .value_kind:     by_value
      - .offset:         40
        .size:           4
        .value_kind:     by_value
      - .offset:         44
        .size:           4
        .value_kind:     by_value
      - .offset:         48
        .size:           4
        .value_kind:     by_value
      - .offset:         52
        .size:           4
        .value_kind:     by_value
      - .offset:         56
        .size:           4
        .value_kind:     by_value
      - .offset:         60
        .size:           4
        .value_kind:     by_value
      - .offset:         64
        .size:           4
        .value_kind:     by_value
      - .offset:         68
        .size:           4
        .value_kind:     by_value
      - .address_space:  global
        .offset:         72
        .size:           8
        .value_kind:     global_buffer
      - .offset:         80
        .size:           4
        .value_kind:     by_value
      - .offset:         84
        .size:           1
        .value_kind:     by_value
      - .offset:         85
        .size:           1
        .value_kind:     by_value
      - .offset:         88
        .size:           4
        .value_kind:     hidden_block_count_x
      - .offset:         92
        .size:           4
        .value_kind:     hidden_block_count_y
      - .offset:         96
        .size:           4
        .value_kind:     hidden_block_count_z
      - .offset:         100
        .size:           2
        .value_kind:     hidden_group_size_x
      - .offset:         102
        .size:           2
        .value_kind:     hidden_group_size_y
      - .offset:         104
        .size:           2
        .value_kind:     hidden_group_size_z
      - .offset:         106
        .size:           2
        .value_kind:     hidden_remainder_x
      - .offset:         108
        .size:           2
        .value_kind:     hidden_remainder_y
      - .offset:         110
        .size:           2
        .value_kind:     hidden_remainder_z
      - .offset:         128
        .size:           8
        .value_kind:     hidden_global_offset_x
      - .offset:         136
        .size:           8
        .value_kind:     hidden_global_offset_y
      - .offset:         144
        .size:           8
        .value_kind:     hidden_global_offset_z
      - .offset:         152
        .size:           2
        .value_kind:     hidden_grid_dims
    .group_segment_fixed_size: 0
    .kernarg_segment_align: 8
    .kernarg_segment_size: 344
    .language:       OpenCL C
    .language_version:
      - 2
      - 0
    .max_flat_workgroup_size: 1024
    .name:           _ZN2at6native12_GLOBAL__N_139avg_pool2d_backward_out_cuda_frame_nhwcIfflEEvT1_PKT_llliiiiiiiiPS4_ibb
    .private_segment_fixed_size: 0
    .sgpr_count:     63
    .sgpr_spill_count: 0
    .symbol:         _ZN2at6native12_GLOBAL__N_139avg_pool2d_backward_out_cuda_frame_nhwcIfflEEvT1_PKT_llliiiiiiiiPS4_ibb.kd
    .uniform_work_group_size: 1
    .uses_dynamic_stack: false
    .vgpr_count:     28
    .vgpr_spill_count: 0
    .wavefront_size: 32
  - .args:
      - .offset:         0
        .size:           8
        .value_kind:     by_value
      - .address_space:  global
        .offset:         8
        .size:           8
        .value_kind:     global_buffer
      - .offset:         16
        .size:           8
        .value_kind:     by_value
      - .offset:         24
        .size:           8
        .value_kind:     by_value
      - .offset:         32
        .size:           8
        .value_kind:     by_value
      - .offset:         40
        .size:           8
        .value_kind:     by_value
      - .offset:         48
        .size:           8
        .value_kind:     by_value
      - .offset:         56
        .size:           4
        .value_kind:     by_value
      - .offset:         60
        .size:           4
        .value_kind:     by_value
      - .offset:         64
        .size:           4
        .value_kind:     by_value
      - .offset:         68
        .size:           4
        .value_kind:     by_value
      - .offset:         72
        .size:           4
        .value_kind:     by_value
      - .offset:         76
        .size:           4
        .value_kind:     by_value
      - .address_space:  global
        .offset:         80
        .size:           8
        .value_kind:     global_buffer
      - .offset:         88
        .size:           4
        .value_kind:     by_value
      - .offset:         92
        .size:           1
        .value_kind:     by_value
      - .offset:         93
        .size:           1
        .value_kind:     by_value
      - .offset:         96
        .size:           4
        .value_kind:     hidden_block_count_x
      - .offset:         100
        .size:           4
        .value_kind:     hidden_block_count_y
      - .offset:         104
        .size:           4
        .value_kind:     hidden_block_count_z
      - .offset:         108
        .size:           2
        .value_kind:     hidden_group_size_x
      - .offset:         110
        .size:           2
        .value_kind:     hidden_group_size_y
      - .offset:         112
        .size:           2
        .value_kind:     hidden_group_size_z
      - .offset:         114
        .size:           2
        .value_kind:     hidden_remainder_x
      - .offset:         116
        .size:           2
        .value_kind:     hidden_remainder_y
      - .offset:         118
        .size:           2
        .value_kind:     hidden_remainder_z
      - .offset:         136
        .size:           8
        .value_kind:     hidden_global_offset_x
      - .offset:         144
        .size:           8
        .value_kind:     hidden_global_offset_y
      - .offset:         152
        .size:           8
        .value_kind:     hidden_global_offset_z
      - .offset:         160
        .size:           2
        .value_kind:     hidden_grid_dims
    .group_segment_fixed_size: 0
    .kernarg_segment_align: 8
    .kernarg_segment_size: 352
    .language:       OpenCL C
    .language_version:
      - 2
      - 0
    .max_flat_workgroup_size: 1024
    .name:           _ZN2at6native12_GLOBAL__N_134avg_pool2d_backward_out_cuda_frameIfflEEvT1_PKT_llllliiiiiiPS4_ibb
    .private_segment_fixed_size: 0
    .sgpr_count:     66
    .sgpr_spill_count: 0
    .symbol:         _ZN2at6native12_GLOBAL__N_134avg_pool2d_backward_out_cuda_frameIfflEEvT1_PKT_llllliiiiiiPS4_ibb.kd
    .uniform_work_group_size: 1
    .uses_dynamic_stack: false
    .vgpr_count:     29
    .vgpr_spill_count: 0
    .wavefront_size: 32
  - .args:
      - .offset:         0
        .size:           4
        .value_kind:     by_value
      - .address_space:  global
        .offset:         8
        .size:           8
        .value_kind:     global_buffer
      - .offset:         16
        .size:           8
        .value_kind:     by_value
      - .offset:         24
        .size:           8
        .value_kind:     by_value
      - .offset:         32
        .size:           8
        .value_kind:     by_value
      - .offset:         40
        .size:           4
        .value_kind:     by_value
      - .offset:         44
        .size:           4
        .value_kind:     by_value
      - .offset:         48
        .size:           4
        .value_kind:     by_value
      - .offset:         52
        .size:           4
        .value_kind:     by_value
      - .offset:         56
        .size:           4
        .value_kind:     by_value
      - .offset:         60
        .size:           4
        .value_kind:     by_value
      - .offset:         64
        .size:           4
        .value_kind:     by_value
      - .offset:         68
        .size:           4
        .value_kind:     by_value
      - .address_space:  global
        .offset:         72
        .size:           8
        .value_kind:     global_buffer
      - .offset:         80
        .size:           4
        .value_kind:     by_value
      - .offset:         84
        .size:           1
        .value_kind:     by_value
      - .offset:         85
        .size:           1
        .value_kind:     by_value
      - .offset:         88
        .size:           4
        .value_kind:     hidden_block_count_x
      - .offset:         92
        .size:           4
        .value_kind:     hidden_block_count_y
      - .offset:         96
        .size:           4
        .value_kind:     hidden_block_count_z
      - .offset:         100
        .size:           2
        .value_kind:     hidden_group_size_x
      - .offset:         102
        .size:           2
        .value_kind:     hidden_group_size_y
      - .offset:         104
        .size:           2
        .value_kind:     hidden_group_size_z
      - .offset:         106
        .size:           2
        .value_kind:     hidden_remainder_x
      - .offset:         108
        .size:           2
        .value_kind:     hidden_remainder_y
      - .offset:         110
        .size:           2
        .value_kind:     hidden_remainder_z
      - .offset:         128
        .size:           8
        .value_kind:     hidden_global_offset_x
      - .offset:         136
        .size:           8
        .value_kind:     hidden_global_offset_y
      - .offset:         144
        .size:           8
        .value_kind:     hidden_global_offset_z
      - .offset:         152
        .size:           2
        .value_kind:     hidden_grid_dims
    .group_segment_fixed_size: 0
    .kernarg_segment_align: 8
    .kernarg_segment_size: 344
    .language:       OpenCL C
    .language_version:
      - 2
      - 0
    .max_flat_workgroup_size: 1024
    .name:           _ZN2at6native12_GLOBAL__N_139avg_pool2d_backward_out_cuda_frame_nhwcIN3c104HalfEfiEEvT1_PKT_llliiiiiiiiPS6_ibb
    .private_segment_fixed_size: 0
    .sgpr_count:     63
    .sgpr_spill_count: 0
    .symbol:         _ZN2at6native12_GLOBAL__N_139avg_pool2d_backward_out_cuda_frame_nhwcIN3c104HalfEfiEEvT1_PKT_llliiiiiiiiPS6_ibb.kd
    .uniform_work_group_size: 1
    .uses_dynamic_stack: false
    .vgpr_count:     26
    .vgpr_spill_count: 0
    .wavefront_size: 32
  - .args:
      - .offset:         0
        .size:           4
        .value_kind:     by_value
      - .address_space:  global
        .offset:         8
        .size:           8
        .value_kind:     global_buffer
      - .offset:         16
        .size:           8
        .value_kind:     by_value
      - .offset:         24
        .size:           8
        .value_kind:     by_value
      - .offset:         32
        .size:           8
        .value_kind:     by_value
      - .offset:         40
        .size:           8
        .value_kind:     by_value
      - .offset:         48
        .size:           8
        .value_kind:     by_value
      - .offset:         56
        .size:           4
        .value_kind:     by_value
      - .offset:         60
        .size:           4
        .value_kind:     by_value
      - .offset:         64
        .size:           4
        .value_kind:     by_value
      - .offset:         68
        .size:           4
        .value_kind:     by_value
      - .offset:         72
        .size:           4
        .value_kind:     by_value
      - .offset:         76
        .size:           4
        .value_kind:     by_value
      - .address_space:  global
        .offset:         80
        .size:           8
        .value_kind:     global_buffer
      - .offset:         88
        .size:           4
        .value_kind:     by_value
      - .offset:         92
        .size:           1
        .value_kind:     by_value
      - .offset:         93
        .size:           1
        .value_kind:     by_value
      - .offset:         96
        .size:           4
        .value_kind:     hidden_block_count_x
      - .offset:         100
        .size:           4
        .value_kind:     hidden_block_count_y
      - .offset:         104
        .size:           4
        .value_kind:     hidden_block_count_z
      - .offset:         108
        .size:           2
        .value_kind:     hidden_group_size_x
      - .offset:         110
        .size:           2
        .value_kind:     hidden_group_size_y
      - .offset:         112
        .size:           2
        .value_kind:     hidden_group_size_z
      - .offset:         114
        .size:           2
        .value_kind:     hidden_remainder_x
      - .offset:         116
        .size:           2
        .value_kind:     hidden_remainder_y
      - .offset:         118
        .size:           2
        .value_kind:     hidden_remainder_z
      - .offset:         136
        .size:           8
        .value_kind:     hidden_global_offset_x
      - .offset:         144
        .size:           8
        .value_kind:     hidden_global_offset_y
      - .offset:         152
        .size:           8
        .value_kind:     hidden_global_offset_z
      - .offset:         160
        .size:           2
        .value_kind:     hidden_grid_dims
    .group_segment_fixed_size: 0
    .kernarg_segment_align: 8
    .kernarg_segment_size: 352
    .language:       OpenCL C
    .language_version:
      - 2
      - 0
    .max_flat_workgroup_size: 1024
    .name:           _ZN2at6native12_GLOBAL__N_134avg_pool2d_backward_out_cuda_frameIN3c104HalfEfiEEvT1_PKT_llllliiiiiiPS6_ibb
    .private_segment_fixed_size: 0
    .sgpr_count:     64
    .sgpr_spill_count: 0
    .symbol:         _ZN2at6native12_GLOBAL__N_134avg_pool2d_backward_out_cuda_frameIN3c104HalfEfiEEvT1_PKT_llllliiiiiiPS6_ibb.kd
    .uniform_work_group_size: 1
    .uses_dynamic_stack: false
    .vgpr_count:     27
    .vgpr_spill_count: 0
    .wavefront_size: 32
  - .args:
      - .offset:         0
        .size:           8
        .value_kind:     by_value
      - .address_space:  global
        .offset:         8
        .size:           8
        .value_kind:     global_buffer
      - .offset:         16
        .size:           8
        .value_kind:     by_value
      - .offset:         24
        .size:           8
        .value_kind:     by_value
      - .offset:         32
        .size:           8
        .value_kind:     by_value
      - .offset:         40
        .size:           4
        .value_kind:     by_value
      - .offset:         44
        .size:           4
        .value_kind:     by_value
      - .offset:         48
        .size:           4
        .value_kind:     by_value
      - .offset:         52
        .size:           4
        .value_kind:     by_value
      - .offset:         56
        .size:           4
        .value_kind:     by_value
      - .offset:         60
        .size:           4
        .value_kind:     by_value
      - .offset:         64
        .size:           4
        .value_kind:     by_value
      - .offset:         68
        .size:           4
        .value_kind:     by_value
      - .address_space:  global
        .offset:         72
        .size:           8
        .value_kind:     global_buffer
      - .offset:         80
        .size:           4
        .value_kind:     by_value
      - .offset:         84
        .size:           1
        .value_kind:     by_value
      - .offset:         85
        .size:           1
        .value_kind:     by_value
      - .offset:         88
        .size:           4
        .value_kind:     hidden_block_count_x
      - .offset:         92
        .size:           4
        .value_kind:     hidden_block_count_y
      - .offset:         96
        .size:           4
        .value_kind:     hidden_block_count_z
      - .offset:         100
        .size:           2
        .value_kind:     hidden_group_size_x
      - .offset:         102
        .size:           2
        .value_kind:     hidden_group_size_y
      - .offset:         104
        .size:           2
        .value_kind:     hidden_group_size_z
      - .offset:         106
        .size:           2
        .value_kind:     hidden_remainder_x
      - .offset:         108
        .size:           2
        .value_kind:     hidden_remainder_y
      - .offset:         110
        .size:           2
        .value_kind:     hidden_remainder_z
      - .offset:         128
        .size:           8
        .value_kind:     hidden_global_offset_x
      - .offset:         136
        .size:           8
        .value_kind:     hidden_global_offset_y
      - .offset:         144
        .size:           8
        .value_kind:     hidden_global_offset_z
      - .offset:         152
        .size:           2
        .value_kind:     hidden_grid_dims
    .group_segment_fixed_size: 0
    .kernarg_segment_align: 8
    .kernarg_segment_size: 344
    .language:       OpenCL C
    .language_version:
      - 2
      - 0
    .max_flat_workgroup_size: 1024
    .name:           _ZN2at6native12_GLOBAL__N_139avg_pool2d_backward_out_cuda_frame_nhwcIN3c104HalfEflEEvT1_PKT_llliiiiiiiiPS6_ibb
    .private_segment_fixed_size: 0
    .sgpr_count:     63
    .sgpr_spill_count: 0
    .symbol:         _ZN2at6native12_GLOBAL__N_139avg_pool2d_backward_out_cuda_frame_nhwcIN3c104HalfEflEEvT1_PKT_llliiiiiiiiPS6_ibb.kd
    .uniform_work_group_size: 1
    .uses_dynamic_stack: false
    .vgpr_count:     26
    .vgpr_spill_count: 0
    .wavefront_size: 32
  - .args:
      - .offset:         0
        .size:           8
        .value_kind:     by_value
      - .address_space:  global
        .offset:         8
        .size:           8
        .value_kind:     global_buffer
      - .offset:         16
        .size:           8
        .value_kind:     by_value
      - .offset:         24
        .size:           8
        .value_kind:     by_value
      - .offset:         32
        .size:           8
        .value_kind:     by_value
      - .offset:         40
        .size:           8
        .value_kind:     by_value
      - .offset:         48
        .size:           8
        .value_kind:     by_value
      - .offset:         56
        .size:           4
        .value_kind:     by_value
      - .offset:         60
        .size:           4
        .value_kind:     by_value
      - .offset:         64
        .size:           4
        .value_kind:     by_value
      - .offset:         68
        .size:           4
        .value_kind:     by_value
      - .offset:         72
        .size:           4
        .value_kind:     by_value
      - .offset:         76
        .size:           4
        .value_kind:     by_value
      - .address_space:  global
        .offset:         80
        .size:           8
        .value_kind:     global_buffer
      - .offset:         88
        .size:           4
        .value_kind:     by_value
      - .offset:         92
        .size:           1
        .value_kind:     by_value
      - .offset:         93
        .size:           1
        .value_kind:     by_value
      - .offset:         96
        .size:           4
        .value_kind:     hidden_block_count_x
      - .offset:         100
        .size:           4
        .value_kind:     hidden_block_count_y
      - .offset:         104
        .size:           4
        .value_kind:     hidden_block_count_z
      - .offset:         108
        .size:           2
        .value_kind:     hidden_group_size_x
      - .offset:         110
        .size:           2
        .value_kind:     hidden_group_size_y
      - .offset:         112
        .size:           2
        .value_kind:     hidden_group_size_z
      - .offset:         114
        .size:           2
        .value_kind:     hidden_remainder_x
      - .offset:         116
        .size:           2
        .value_kind:     hidden_remainder_y
      - .offset:         118
        .size:           2
        .value_kind:     hidden_remainder_z
      - .offset:         136
        .size:           8
        .value_kind:     hidden_global_offset_x
      - .offset:         144
        .size:           8
        .value_kind:     hidden_global_offset_y
      - .offset:         152
        .size:           8
        .value_kind:     hidden_global_offset_z
      - .offset:         160
        .size:           2
        .value_kind:     hidden_grid_dims
    .group_segment_fixed_size: 0
    .kernarg_segment_align: 8
    .kernarg_segment_size: 352
    .language:       OpenCL C
    .language_version:
      - 2
      - 0
    .max_flat_workgroup_size: 1024
    .name:           _ZN2at6native12_GLOBAL__N_134avg_pool2d_backward_out_cuda_frameIN3c104HalfEflEEvT1_PKT_llllliiiiiiPS6_ibb
    .private_segment_fixed_size: 0
    .sgpr_count:     66
    .sgpr_spill_count: 0
    .symbol:         _ZN2at6native12_GLOBAL__N_134avg_pool2d_backward_out_cuda_frameIN3c104HalfEflEEvT1_PKT_llllliiiiiiPS6_ibb.kd
    .uniform_work_group_size: 1
    .uses_dynamic_stack: false
    .vgpr_count:     27
    .vgpr_spill_count: 0
    .wavefront_size: 32
  - .args:
      - .offset:         0
        .size:           4
        .value_kind:     by_value
      - .address_space:  global
        .offset:         8
        .size:           8
        .value_kind:     global_buffer
      - .offset:         16
        .size:           8
        .value_kind:     by_value
      - .offset:         24
        .size:           8
        .value_kind:     by_value
      - .offset:         32
        .size:           8
        .value_kind:     by_value
      - .offset:         40
        .size:           4
        .value_kind:     by_value
      - .offset:         44
        .size:           4
        .value_kind:     by_value
      - .offset:         48
        .size:           4
        .value_kind:     by_value
      - .offset:         52
        .size:           4
        .value_kind:     by_value
      - .offset:         56
        .size:           4
        .value_kind:     by_value
      - .offset:         60
        .size:           4
        .value_kind:     by_value
      - .offset:         64
        .size:           4
        .value_kind:     by_value
      - .offset:         68
        .size:           4
        .value_kind:     by_value
      - .address_space:  global
        .offset:         72
        .size:           8
        .value_kind:     global_buffer
      - .offset:         80
        .size:           4
        .value_kind:     by_value
      - .offset:         84
        .size:           1
        .value_kind:     by_value
      - .offset:         85
        .size:           1
        .value_kind:     by_value
      - .offset:         88
        .size:           4
        .value_kind:     hidden_block_count_x
      - .offset:         92
        .size:           4
        .value_kind:     hidden_block_count_y
      - .offset:         96
        .size:           4
        .value_kind:     hidden_block_count_z
      - .offset:         100
        .size:           2
        .value_kind:     hidden_group_size_x
      - .offset:         102
        .size:           2
        .value_kind:     hidden_group_size_y
      - .offset:         104
        .size:           2
        .value_kind:     hidden_group_size_z
      - .offset:         106
        .size:           2
        .value_kind:     hidden_remainder_x
      - .offset:         108
        .size:           2
        .value_kind:     hidden_remainder_y
      - .offset:         110
        .size:           2
        .value_kind:     hidden_remainder_z
      - .offset:         128
        .size:           8
        .value_kind:     hidden_global_offset_x
      - .offset:         136
        .size:           8
        .value_kind:     hidden_global_offset_y
      - .offset:         144
        .size:           8
        .value_kind:     hidden_global_offset_z
      - .offset:         152
        .size:           2
        .value_kind:     hidden_grid_dims
    .group_segment_fixed_size: 0
    .kernarg_segment_align: 8
    .kernarg_segment_size: 344
    .language:       OpenCL C
    .language_version:
      - 2
      - 0
    .max_flat_workgroup_size: 1024
    .name:           _ZN2at6native12_GLOBAL__N_139avg_pool2d_backward_out_cuda_frame_nhwcIN3c108BFloat16EfiEEvT1_PKT_llliiiiiiiiPS6_ibb
    .private_segment_fixed_size: 0
    .sgpr_count:     63
    .sgpr_spill_count: 0
    .symbol:         _ZN2at6native12_GLOBAL__N_139avg_pool2d_backward_out_cuda_frame_nhwcIN3c108BFloat16EfiEEvT1_PKT_llliiiiiiiiPS6_ibb.kd
    .uniform_work_group_size: 1
    .uses_dynamic_stack: false
    .vgpr_count:     28
    .vgpr_spill_count: 0
    .wavefront_size: 32
  - .args:
      - .offset:         0
        .size:           4
        .value_kind:     by_value
      - .address_space:  global
        .offset:         8
        .size:           8
        .value_kind:     global_buffer
      - .offset:         16
        .size:           8
        .value_kind:     by_value
      - .offset:         24
        .size:           8
        .value_kind:     by_value
      - .offset:         32
        .size:           8
        .value_kind:     by_value
      - .offset:         40
        .size:           8
        .value_kind:     by_value
      - .offset:         48
        .size:           8
        .value_kind:     by_value
      - .offset:         56
        .size:           4
        .value_kind:     by_value
      - .offset:         60
        .size:           4
        .value_kind:     by_value
      - .offset:         64
        .size:           4
        .value_kind:     by_value
      - .offset:         68
        .size:           4
        .value_kind:     by_value
      - .offset:         72
        .size:           4
        .value_kind:     by_value
      - .offset:         76
        .size:           4
        .value_kind:     by_value
      - .address_space:  global
        .offset:         80
        .size:           8
        .value_kind:     global_buffer
      - .offset:         88
        .size:           4
        .value_kind:     by_value
      - .offset:         92
        .size:           1
        .value_kind:     by_value
      - .offset:         93
        .size:           1
        .value_kind:     by_value
      - .offset:         96
        .size:           4
        .value_kind:     hidden_block_count_x
      - .offset:         100
        .size:           4
        .value_kind:     hidden_block_count_y
      - .offset:         104
        .size:           4
        .value_kind:     hidden_block_count_z
      - .offset:         108
        .size:           2
        .value_kind:     hidden_group_size_x
      - .offset:         110
        .size:           2
        .value_kind:     hidden_group_size_y
      - .offset:         112
        .size:           2
        .value_kind:     hidden_group_size_z
      - .offset:         114
        .size:           2
        .value_kind:     hidden_remainder_x
      - .offset:         116
        .size:           2
        .value_kind:     hidden_remainder_y
      - .offset:         118
        .size:           2
        .value_kind:     hidden_remainder_z
      - .offset:         136
        .size:           8
        .value_kind:     hidden_global_offset_x
      - .offset:         144
        .size:           8
        .value_kind:     hidden_global_offset_y
      - .offset:         152
        .size:           8
        .value_kind:     hidden_global_offset_z
      - .offset:         160
        .size:           2
        .value_kind:     hidden_grid_dims
    .group_segment_fixed_size: 0
    .kernarg_segment_align: 8
    .kernarg_segment_size: 352
    .language:       OpenCL C
    .language_version:
      - 2
      - 0
    .max_flat_workgroup_size: 1024
    .name:           _ZN2at6native12_GLOBAL__N_134avg_pool2d_backward_out_cuda_frameIN3c108BFloat16EfiEEvT1_PKT_llllliiiiiiPS6_ibb
    .private_segment_fixed_size: 0
    .sgpr_count:     64
    .sgpr_spill_count: 0
    .symbol:         _ZN2at6native12_GLOBAL__N_134avg_pool2d_backward_out_cuda_frameIN3c108BFloat16EfiEEvT1_PKT_llllliiiiiiPS6_ibb.kd
    .uniform_work_group_size: 1
    .uses_dynamic_stack: false
    .vgpr_count:     29
    .vgpr_spill_count: 0
    .wavefront_size: 32
  - .args:
      - .offset:         0
        .size:           8
        .value_kind:     by_value
      - .address_space:  global
        .offset:         8
        .size:           8
        .value_kind:     global_buffer
      - .offset:         16
        .size:           8
        .value_kind:     by_value
      - .offset:         24
        .size:           8
        .value_kind:     by_value
      - .offset:         32
        .size:           8
        .value_kind:     by_value
      - .offset:         40
        .size:           4
        .value_kind:     by_value
      - .offset:         44
        .size:           4
        .value_kind:     by_value
      - .offset:         48
        .size:           4
        .value_kind:     by_value
      - .offset:         52
        .size:           4
        .value_kind:     by_value
      - .offset:         56
        .size:           4
        .value_kind:     by_value
      - .offset:         60
        .size:           4
        .value_kind:     by_value
      - .offset:         64
        .size:           4
        .value_kind:     by_value
      - .offset:         68
        .size:           4
        .value_kind:     by_value
      - .address_space:  global
        .offset:         72
        .size:           8
        .value_kind:     global_buffer
      - .offset:         80
        .size:           4
        .value_kind:     by_value
      - .offset:         84
        .size:           1
        .value_kind:     by_value
      - .offset:         85
        .size:           1
        .value_kind:     by_value
      - .offset:         88
        .size:           4
        .value_kind:     hidden_block_count_x
      - .offset:         92
        .size:           4
        .value_kind:     hidden_block_count_y
      - .offset:         96
        .size:           4
        .value_kind:     hidden_block_count_z
      - .offset:         100
        .size:           2
        .value_kind:     hidden_group_size_x
      - .offset:         102
        .size:           2
        .value_kind:     hidden_group_size_y
      - .offset:         104
        .size:           2
        .value_kind:     hidden_group_size_z
      - .offset:         106
        .size:           2
        .value_kind:     hidden_remainder_x
      - .offset:         108
        .size:           2
        .value_kind:     hidden_remainder_y
      - .offset:         110
        .size:           2
        .value_kind:     hidden_remainder_z
      - .offset:         128
        .size:           8
        .value_kind:     hidden_global_offset_x
      - .offset:         136
        .size:           8
        .value_kind:     hidden_global_offset_y
      - .offset:         144
        .size:           8
        .value_kind:     hidden_global_offset_z
      - .offset:         152
        .size:           2
        .value_kind:     hidden_grid_dims
    .group_segment_fixed_size: 0
    .kernarg_segment_align: 8
    .kernarg_segment_size: 344
    .language:       OpenCL C
    .language_version:
      - 2
      - 0
    .max_flat_workgroup_size: 1024
    .name:           _ZN2at6native12_GLOBAL__N_139avg_pool2d_backward_out_cuda_frame_nhwcIN3c108BFloat16EflEEvT1_PKT_llliiiiiiiiPS6_ibb
    .private_segment_fixed_size: 0
    .sgpr_count:     63
    .sgpr_spill_count: 0
    .symbol:         _ZN2at6native12_GLOBAL__N_139avg_pool2d_backward_out_cuda_frame_nhwcIN3c108BFloat16EflEEvT1_PKT_llliiiiiiiiPS6_ibb.kd
    .uniform_work_group_size: 1
    .uses_dynamic_stack: false
    .vgpr_count:     28
    .vgpr_spill_count: 0
    .wavefront_size: 32
  - .args:
      - .offset:         0
        .size:           8
        .value_kind:     by_value
      - .address_space:  global
        .offset:         8
        .size:           8
        .value_kind:     global_buffer
      - .offset:         16
        .size:           8
        .value_kind:     by_value
      - .offset:         24
        .size:           8
        .value_kind:     by_value
      - .offset:         32
        .size:           8
        .value_kind:     by_value
      - .offset:         40
        .size:           8
        .value_kind:     by_value
      - .offset:         48
        .size:           8
        .value_kind:     by_value
      - .offset:         56
        .size:           4
        .value_kind:     by_value
      - .offset:         60
        .size:           4
        .value_kind:     by_value
      - .offset:         64
        .size:           4
        .value_kind:     by_value
      - .offset:         68
        .size:           4
        .value_kind:     by_value
      - .offset:         72
        .size:           4
        .value_kind:     by_value
      - .offset:         76
        .size:           4
        .value_kind:     by_value
      - .address_space:  global
        .offset:         80
        .size:           8
        .value_kind:     global_buffer
      - .offset:         88
        .size:           4
        .value_kind:     by_value
      - .offset:         92
        .size:           1
        .value_kind:     by_value
      - .offset:         93
        .size:           1
        .value_kind:     by_value
      - .offset:         96
        .size:           4
        .value_kind:     hidden_block_count_x
      - .offset:         100
        .size:           4
        .value_kind:     hidden_block_count_y
      - .offset:         104
        .size:           4
        .value_kind:     hidden_block_count_z
      - .offset:         108
        .size:           2
        .value_kind:     hidden_group_size_x
      - .offset:         110
        .size:           2
        .value_kind:     hidden_group_size_y
      - .offset:         112
        .size:           2
        .value_kind:     hidden_group_size_z
      - .offset:         114
        .size:           2
        .value_kind:     hidden_remainder_x
      - .offset:         116
        .size:           2
        .value_kind:     hidden_remainder_y
      - .offset:         118
        .size:           2
        .value_kind:     hidden_remainder_z
      - .offset:         136
        .size:           8
        .value_kind:     hidden_global_offset_x
      - .offset:         144
        .size:           8
        .value_kind:     hidden_global_offset_y
      - .offset:         152
        .size:           8
        .value_kind:     hidden_global_offset_z
      - .offset:         160
        .size:           2
        .value_kind:     hidden_grid_dims
    .group_segment_fixed_size: 0
    .kernarg_segment_align: 8
    .kernarg_segment_size: 352
    .language:       OpenCL C
    .language_version:
      - 2
      - 0
    .max_flat_workgroup_size: 1024
    .name:           _ZN2at6native12_GLOBAL__N_134avg_pool2d_backward_out_cuda_frameIN3c108BFloat16EflEEvT1_PKT_llllliiiiiiPS6_ibb
    .private_segment_fixed_size: 0
    .sgpr_count:     66
    .sgpr_spill_count: 0
    .symbol:         _ZN2at6native12_GLOBAL__N_134avg_pool2d_backward_out_cuda_frameIN3c108BFloat16EflEEvT1_PKT_llllliiiiiiPS6_ibb.kd
    .uniform_work_group_size: 1
    .uses_dynamic_stack: false
    .vgpr_count:     29
    .vgpr_spill_count: 0
    .wavefront_size: 32
amdhsa.target:   amdgcn-amd-amdhsa--gfx1250
amdhsa.version:
  - 1
  - 2
...

	.end_amdgpu_metadata
